;; amdgpu-corpus repo=ROCm/rocm-examples kind=compiled arch=gfx1250 opt=O3
	.amdgcn_target "amdgcn-amd-amdhsa--gfx1250"
	.amdhsa_code_object_version 6
	.text
	.protected	_Z8kernel_aiPViiPi      ; -- Begin function _Z8kernel_aiPViiPi
	.globl	_Z8kernel_aiPViiPi
	.p2align	8
	.type	_Z8kernel_aiPViiPi,@function
_Z8kernel_aiPViiPi:                     ; @_Z8kernel_aiPViiPi
; %bb.0:
	s_clause 0x1
	s_load_b64 s[6:7], s[0:1], 0x8
	s_load_b64 s[8:9], s[0:1], 0x18
	v_mov_b32_e32 v3, 0
	v_mbcnt_lo_u32_b32 v38, -1, 0
	v_mov_b64_e32 v[0:1], 0
	s_delay_alu instid0(VALU_DEP_2) | instskip(NEXT) | instid1(VALU_DEP_1)
	v_readfirstlane_b32 s2, v38
	v_cmp_eq_u32_e64 s2, s2, v38
	s_wait_kmcnt 0x0
	flat_load_b32 v2, v3, s[6:7] scope:SCOPE_SYS
	s_wait_loadcnt 0x0
	s_load_b32 s20, s[8:9], 0x0
	s_load_b64 s[4:5], s[0:1], 0x70
	s_and_saveexec_b32 s3, s2
	s_cbranch_execz .LBB0_6
; %bb.1:
	s_wait_kmcnt 0x0
	global_load_b64 v[6:7], v3, s[4:5] offset:24 scope:SCOPE_SYS
	s_wait_loadcnt 0x0
	global_inv scope:SCOPE_SYS
	s_clause 0x1
	global_load_b64 v[0:1], v3, s[4:5] offset:40
	global_load_b64 v[4:5], v3, s[4:5]
	s_mov_b32 s10, exec_lo
	s_wait_loadcnt 0x1
	v_and_b32_e32 v0, v0, v6
	v_and_b32_e32 v1, v1, v7
	s_delay_alu instid0(VALU_DEP_1) | instskip(SKIP_1) | instid1(VALU_DEP_1)
	v_mul_u64_e32 v[0:1], 24, v[0:1]
	s_wait_loadcnt 0x0
	v_add_nc_u64_e32 v[0:1], v[4:5], v[0:1]
	global_load_b64 v[4:5], v[0:1], off scope:SCOPE_SYS
	s_wait_xcnt 0x0
	s_wait_loadcnt 0x0
	global_atomic_cmpswap_b64 v[0:1], v3, v[4:7], s[4:5] offset:24 th:TH_ATOMIC_RETURN scope:SCOPE_SYS
	s_wait_loadcnt 0x0
	global_inv scope:SCOPE_SYS
	s_wait_xcnt 0x0
	v_cmpx_ne_u64_e64 v[0:1], v[6:7]
	s_cbranch_execz .LBB0_5
; %bb.2:
	v_mov_b32_e32 v4, 0
	s_mov_b32 s11, 0
.LBB0_3:                                ; =>This Inner Loop Header: Depth=1
	s_sleep 1
	s_clause 0x1
	global_load_b64 v[6:7], v4, s[4:5] offset:40
	global_load_b64 v[10:11], v4, s[4:5]
	v_mov_b64_e32 v[8:9], v[0:1]
	s_wait_loadcnt 0x1
	s_delay_alu instid0(VALU_DEP_1) | instskip(NEXT) | instid1(VALU_DEP_2)
	v_and_b32_e32 v0, v6, v8
	v_and_b32_e32 v5, v7, v9
	s_wait_loadcnt 0x0
	s_delay_alu instid0(VALU_DEP_2) | instskip(NEXT) | instid1(VALU_DEP_1)
	v_mad_nc_u64_u32 v[0:1], v0, 24, v[10:11]
	v_mad_u32 v1, v5, 24, v1
	global_load_b64 v[6:7], v[0:1], off scope:SCOPE_SYS
	s_wait_xcnt 0x0
	s_wait_loadcnt 0x0
	global_atomic_cmpswap_b64 v[0:1], v4, v[6:9], s[4:5] offset:24 th:TH_ATOMIC_RETURN scope:SCOPE_SYS
	s_wait_loadcnt 0x0
	global_inv scope:SCOPE_SYS
	v_cmp_eq_u64_e32 vcc_lo, v[0:1], v[8:9]
	s_or_b32 s11, vcc_lo, s11
	s_wait_xcnt 0x0
	s_and_not1_b32 exec_lo, exec_lo, s11
	s_cbranch_execnz .LBB0_3
; %bb.4:
	s_or_b32 exec_lo, exec_lo, s11
.LBB0_5:
	s_delay_alu instid0(SALU_CYCLE_1)
	s_or_b32 exec_lo, exec_lo, s10
.LBB0_6:
	s_delay_alu instid0(SALU_CYCLE_1)
	s_or_b32 exec_lo, exec_lo, s3
	s_wait_kmcnt 0x0
	s_clause 0x1
	global_load_b64 v[8:9], v3, s[4:5] offset:40
	global_load_b128 v[4:7], v3, s[4:5]
	v_readfirstlane_b32 s10, v0
	v_readfirstlane_b32 s11, v1
	s_mov_b32 s3, exec_lo
	s_wait_loadcnt 0x1
	v_and_b32_e32 v8, s10, v8
	v_and_b32_e32 v9, s11, v9
	s_delay_alu instid0(VALU_DEP_1) | instskip(SKIP_1) | instid1(VALU_DEP_1)
	v_mul_u64_e32 v[0:1], 24, v[8:9]
	s_wait_loadcnt 0x0
	v_add_nc_u64_e32 v[0:1], v[4:5], v[0:1]
	s_and_saveexec_b32 s12, s2
	s_cbranch_execz .LBB0_8
; %bb.7:
	v_mov_b64_e32 v[12:13], 0x100000002
	v_dual_mov_b32 v10, s3 :: v_dual_mov_b32 v11, 0
	global_store_b128 v[0:1], v[10:13], off offset:8
.LBB0_8:
	s_wait_xcnt 0x0
	s_or_b32 exec_lo, exec_lo, s12
	v_lshlrev_b64_e32 v[8:9], 12, v[8:9]
	s_mov_b32 s12, 0
	v_dual_mov_b32 v35, 0 :: v_dual_lshlrev_b32 v34, 6, v38
	s_mov_b32 s14, s12
	s_mov_b32 s15, s12
	s_mov_b32 s13, s12
	s_delay_alu instid0(VALU_DEP_2)
	v_add_nc_u64_e32 v[8:9], v[6:7], v[8:9]
	v_mov_b64_e32 v[16:17], s[14:15]
	v_mov_b64_e32 v[14:15], s[12:13]
	v_dual_mov_b32 v10, 33 :: v_dual_mov_b32 v11, v35
	v_dual_mov_b32 v12, v35 :: v_dual_mov_b32 v13, v35
	v_readfirstlane_b32 s16, v8
	v_readfirstlane_b32 s17, v9
	s_clause 0x3
	global_store_b128 v34, v[10:13], s[16:17]
	global_store_b128 v34, v[14:17], s[16:17] offset:16
	global_store_b128 v34, v[14:17], s[16:17] offset:32
	;; [unrolled: 1-line block ×3, first 2 shown]
	s_wait_xcnt 0x0
	s_and_saveexec_b32 s3, s2
	s_cbranch_execz .LBB0_16
; %bb.9:
	s_clause 0x1
	global_load_b64 v[14:15], v35, s[4:5] offset:32 scope:SCOPE_SYS
	global_load_b64 v[6:7], v35, s[4:5] offset:40
	s_mov_b32 s12, exec_lo
	v_dual_mov_b32 v12, s10 :: v_dual_mov_b32 v13, s11
	s_wait_loadcnt 0x0
	v_and_b32_e32 v7, s11, v7
	v_and_b32_e32 v6, s10, v6
	s_delay_alu instid0(VALU_DEP_1) | instskip(NEXT) | instid1(VALU_DEP_1)
	v_mul_u64_e32 v[6:7], 24, v[6:7]
	v_add_nc_u64_e32 v[10:11], v[4:5], v[6:7]
	global_store_b64 v[10:11], v[14:15], off
	global_wb scope:SCOPE_SYS
	s_wait_storecnt 0x0
	s_wait_xcnt 0x0
	global_atomic_cmpswap_b64 v[6:7], v35, v[12:15], s[4:5] offset:32 th:TH_ATOMIC_RETURN scope:SCOPE_SYS
	s_wait_loadcnt 0x0
	v_cmpx_ne_u64_e64 v[6:7], v[14:15]
	s_cbranch_execz .LBB0_12
; %bb.10:
	v_mov_b32_e32 v3, 0
	s_mov_b32 s13, 0
.LBB0_11:                               ; =>This Inner Loop Header: Depth=1
	v_dual_mov_b32 v4, s10 :: v_dual_mov_b32 v5, s11
	s_sleep 1
	global_store_b64 v[10:11], v[6:7], off
	global_wb scope:SCOPE_SYS
	s_wait_storecnt 0x0
	s_wait_xcnt 0x0
	global_atomic_cmpswap_b64 v[4:5], v3, v[4:7], s[4:5] offset:32 th:TH_ATOMIC_RETURN scope:SCOPE_SYS
	s_wait_loadcnt 0x0
	v_cmp_eq_u64_e32 vcc_lo, v[4:5], v[6:7]
	v_mov_b64_e32 v[6:7], v[4:5]
	s_or_b32 s13, vcc_lo, s13
	s_delay_alu instid0(SALU_CYCLE_1)
	s_and_not1_b32 exec_lo, exec_lo, s13
	s_cbranch_execnz .LBB0_11
.LBB0_12:
	s_or_b32 exec_lo, exec_lo, s12
	v_mov_b32_e32 v7, 0
	s_mov_b32 s13, exec_lo
	s_mov_b32 s12, exec_lo
	v_mbcnt_lo_u32_b32 v3, s13, 0
	global_load_b64 v[4:5], v7, s[4:5] offset:16
	s_wait_xcnt 0x0
	v_cmpx_eq_u32_e32 0, v3
	s_cbranch_execz .LBB0_14
; %bb.13:
	s_bcnt1_i32_b32 s13, s13
	s_delay_alu instid0(SALU_CYCLE_1)
	v_mov_b32_e32 v6, s13
	global_wb scope:SCOPE_SYS
	s_wait_loadcnt 0x0
	s_wait_storecnt 0x0
	global_atomic_add_u64 v[4:5], v[6:7], off offset:8 scope:SCOPE_SYS
.LBB0_14:
	s_wait_xcnt 0x0
	s_or_b32 exec_lo, exec_lo, s12
	s_wait_loadcnt 0x0
	global_load_b64 v[6:7], v[4:5], off offset:16
	s_wait_loadcnt 0x0
	v_cmp_eq_u64_e32 vcc_lo, 0, v[6:7]
	s_cbranch_vccnz .LBB0_16
; %bb.15:
	global_load_b32 v4, v[4:5], off offset:24
	s_wait_xcnt 0x0
	v_mov_b32_e32 v5, 0
	s_wait_loadcnt 0x0
	v_readfirstlane_b32 s12, v4
	global_wb scope:SCOPE_SYS
	s_wait_storecnt 0x0
	global_store_b64 v[6:7], v[4:5], off scope:SCOPE_SYS
	s_and_b32 m0, s12, 0xffffff
	s_sendmsg sendmsg(MSG_INTERRUPT)
.LBB0_16:
	s_wait_xcnt 0x0
	s_or_b32 exec_lo, exec_lo, s3
	v_add_nc_u64_e32 v[4:5], v[8:9], v[34:35]
	s_branch .LBB0_20
.LBB0_17:                               ;   in Loop: Header=BB0_20 Depth=1
	s_wait_xcnt 0x0
	s_or_b32 exec_lo, exec_lo, s3
	s_delay_alu instid0(VALU_DEP_1)
	v_readfirstlane_b32 s3, v3
	s_cmp_eq_u32 s3, 0
	s_cbranch_scc1 .LBB0_19
; %bb.18:                               ;   in Loop: Header=BB0_20 Depth=1
	s_sleep 1
	s_cbranch_execnz .LBB0_20
	s_branch .LBB0_22
.LBB0_19:
	s_branch .LBB0_22
.LBB0_20:                               ; =>This Inner Loop Header: Depth=1
	v_mov_b32_e32 v3, 1
	s_and_saveexec_b32 s3, s2
	s_cbranch_execz .LBB0_17
; %bb.21:                               ;   in Loop: Header=BB0_20 Depth=1
	global_load_b32 v3, v[0:1], off offset:20 scope:SCOPE_SYS
	s_wait_loadcnt 0x0
	global_inv scope:SCOPE_SYS
	v_and_b32_e32 v3, 1, v3
	s_branch .LBB0_17
.LBB0_22:
	global_load_b64 v[4:5], v[4:5], off
	s_wait_xcnt 0x0
	s_and_saveexec_b32 s12, s2
	s_cbranch_execz .LBB0_26
; %bb.23:
	v_mov_b32_e32 v3, 0
	s_clause 0x2
	global_load_b64 v[0:1], v3, s[4:5] offset:40
	global_load_b64 v[10:11], v3, s[4:5] offset:24 scope:SCOPE_SYS
	global_load_b64 v[6:7], v3, s[4:5]
	s_wait_loadcnt 0x2
	v_readfirstlane_b32 s14, v0
	v_readfirstlane_b32 s15, v1
	s_add_nc_u64 s[2:3], s[14:15], 1
	s_delay_alu instid0(SALU_CYCLE_1) | instskip(NEXT) | instid1(SALU_CYCLE_1)
	s_add_nc_u64 s[10:11], s[2:3], s[10:11]
	s_cmp_eq_u64 s[10:11], 0
	s_cselect_b32 s3, s3, s11
	s_cselect_b32 s2, s2, s10
	v_mov_b32_e32 v9, s3
	s_and_b64 s[10:11], s[2:3], s[14:15]
	v_mov_b32_e32 v8, s2
	s_mul_u64 s[10:11], s[10:11], 24
	s_wait_loadcnt 0x0
	v_add_nc_u64_e32 v[0:1], s[10:11], v[6:7]
	global_store_b64 v[0:1], v[10:11], off
	global_wb scope:SCOPE_SYS
	s_wait_storecnt 0x0
	s_wait_xcnt 0x0
	global_atomic_cmpswap_b64 v[8:9], v3, v[8:11], s[4:5] offset:24 th:TH_ATOMIC_RETURN scope:SCOPE_SYS
	s_wait_loadcnt 0x0
	v_cmp_ne_u64_e32 vcc_lo, v[8:9], v[10:11]
	s_and_b32 exec_lo, exec_lo, vcc_lo
	s_cbranch_execz .LBB0_26
; %bb.24:
	s_mov_b32 s10, 0
.LBB0_25:                               ; =>This Inner Loop Header: Depth=1
	v_dual_mov_b32 v6, s2 :: v_dual_mov_b32 v7, s3
	s_sleep 1
	global_store_b64 v[0:1], v[8:9], off
	global_wb scope:SCOPE_SYS
	s_wait_storecnt 0x0
	s_wait_xcnt 0x0
	global_atomic_cmpswap_b64 v[6:7], v3, v[6:9], s[4:5] offset:24 th:TH_ATOMIC_RETURN scope:SCOPE_SYS
	s_wait_loadcnt 0x0
	v_cmp_eq_u64_e32 vcc_lo, v[6:7], v[8:9]
	v_mov_b64_e32 v[8:9], v[6:7]
	s_or_b32 s10, vcc_lo, s10
	s_delay_alu instid0(SALU_CYCLE_1)
	s_and_not1_b32 exec_lo, exec_lo, s10
	s_cbranch_execnz .LBB0_25
.LBB0_26:
	s_or_b32 exec_lo, exec_lo, s12
	s_get_pc_i64 s[10:11]
	s_add_nc_u64 s[10:11], s[10:11], .str@rel64+4
	s_delay_alu instid0(SALU_CYCLE_1)
	s_cmp_lg_u64 s[10:11], 0
	s_cbranch_scc0 .LBB0_105
; %bb.27:
	v_mov_b64_e32 v[12:13], 0x100000002
	s_wait_loadcnt 0x0
	v_dual_mov_b32 v11, 0 :: v_dual_bitop2_b32 v0, 2, v4 bitop3:0x40
	v_dual_mov_b32 v7, v5 :: v_dual_bitop2_b32 v6, -3, v4 bitop3:0x40
	s_mov_b64 s[12:13], 41
	s_branch .LBB0_29
.LBB0_28:                               ;   in Loop: Header=BB0_29 Depth=1
	s_or_b32 exec_lo, exec_lo, s18
	s_sub_nc_u64 s[12:13], s[12:13], s[14:15]
	s_add_nc_u64 s[10:11], s[10:11], s[14:15]
	s_cmp_lg_u64 s[12:13], 0
	s_cbranch_scc0 .LBB0_104
.LBB0_29:                               ; =>This Loop Header: Depth=1
                                        ;     Child Loop BB0_32 Depth 2
                                        ;     Child Loop BB0_39 Depth 2
	;; [unrolled: 1-line block ×11, first 2 shown]
	v_min_u64 v[8:9], s[12:13], 56
	v_cmp_gt_u64_e64 s2, s[12:13], 7
	s_and_b32 vcc_lo, exec_lo, s2
	v_readfirstlane_b32 s14, v8
	v_readfirstlane_b32 s15, v9
	s_cbranch_vccnz .LBB0_34
; %bb.30:                               ;   in Loop: Header=BB0_29 Depth=1
	v_mov_b64_e32 v[8:9], 0
	s_cmp_eq_u64 s[12:13], 0
	s_cbranch_scc1 .LBB0_33
; %bb.31:                               ;   in Loop: Header=BB0_29 Depth=1
	s_mov_b64 s[2:3], 0
	s_mov_b64 s[16:17], 0
.LBB0_32:                               ;   Parent Loop BB0_29 Depth=1
                                        ; =>  This Inner Loop Header: Depth=2
	s_wait_xcnt 0x0
	s_add_nc_u64 s[18:19], s[10:11], s[16:17]
	s_add_nc_u64 s[16:17], s[16:17], 1
	global_load_u8 v1, v11, s[18:19]
	s_cmp_lg_u32 s14, s16
	s_wait_loadcnt 0x0
	v_and_b32_e32 v10, 0xffff, v1
	s_delay_alu instid0(VALU_DEP_1) | instskip(SKIP_1) | instid1(VALU_DEP_1)
	v_lshlrev_b64_e32 v[14:15], s2, v[10:11]
	s_add_nc_u64 s[2:3], s[2:3], 8
	v_or_b32_e32 v8, v14, v8
	s_delay_alu instid0(VALU_DEP_2)
	v_or_b32_e32 v9, v15, v9
	s_cbranch_scc1 .LBB0_32
.LBB0_33:                               ;   in Loop: Header=BB0_29 Depth=1
	s_mov_b64 s[16:17], s[10:11]
	s_mov_b32 s21, 0
	s_cbranch_execz .LBB0_35
	s_branch .LBB0_36
.LBB0_34:                               ;   in Loop: Header=BB0_29 Depth=1
	s_add_nc_u64 s[16:17], s[10:11], 8
	s_mov_b32 s21, 0
.LBB0_35:                               ;   in Loop: Header=BB0_29 Depth=1
	global_load_b64 v[8:9], v11, s[10:11]
	s_add_co_i32 s21, s14, -8
.LBB0_36:                               ;   in Loop: Header=BB0_29 Depth=1
	s_delay_alu instid0(SALU_CYCLE_1)
	s_cmp_gt_u32 s21, 7
	s_cbranch_scc1 .LBB0_41
; %bb.37:                               ;   in Loop: Header=BB0_29 Depth=1
	v_mov_b64_e32 v[14:15], 0
	s_cmp_eq_u32 s21, 0
	s_cbranch_scc1 .LBB0_40
; %bb.38:                               ;   in Loop: Header=BB0_29 Depth=1
	s_mov_b64 s[2:3], 0
	s_wait_xcnt 0x0
	s_mov_b64 s[18:19], 0
.LBB0_39:                               ;   Parent Loop BB0_29 Depth=1
                                        ; =>  This Inner Loop Header: Depth=2
	s_wait_xcnt 0x0
	s_add_nc_u64 s[22:23], s[16:17], s[18:19]
	s_add_nc_u64 s[18:19], s[18:19], 1
	global_load_u8 v1, v11, s[22:23]
	s_cmp_lg_u32 s21, s18
	s_wait_loadcnt 0x0
	v_and_b32_e32 v10, 0xffff, v1
	s_delay_alu instid0(VALU_DEP_1) | instskip(SKIP_1) | instid1(VALU_DEP_1)
	v_lshlrev_b64_e32 v[16:17], s2, v[10:11]
	s_add_nc_u64 s[2:3], s[2:3], 8
	v_or_b32_e32 v14, v16, v14
	s_delay_alu instid0(VALU_DEP_2)
	v_or_b32_e32 v15, v17, v15
	s_cbranch_scc1 .LBB0_39
.LBB0_40:                               ;   in Loop: Header=BB0_29 Depth=1
	s_wait_xcnt 0x0
	s_mov_b64 s[2:3], s[16:17]
	s_mov_b32 s22, 0
	s_cbranch_execz .LBB0_42
	s_branch .LBB0_43
.LBB0_41:                               ;   in Loop: Header=BB0_29 Depth=1
	s_add_nc_u64 s[2:3], s[16:17], 8
	s_wait_xcnt 0x0
                                        ; implicit-def: $vgpr14_vgpr15
	s_mov_b32 s22, 0
.LBB0_42:                               ;   in Loop: Header=BB0_29 Depth=1
	global_load_b64 v[14:15], v11, s[16:17]
	s_add_co_i32 s22, s21, -8
.LBB0_43:                               ;   in Loop: Header=BB0_29 Depth=1
	s_delay_alu instid0(SALU_CYCLE_1)
	s_cmp_gt_u32 s22, 7
	s_cbranch_scc1 .LBB0_48
; %bb.44:                               ;   in Loop: Header=BB0_29 Depth=1
	v_mov_b64_e32 v[16:17], 0
	s_cmp_eq_u32 s22, 0
	s_cbranch_scc1 .LBB0_47
; %bb.45:                               ;   in Loop: Header=BB0_29 Depth=1
	s_wait_xcnt 0x0
	s_mov_b64 s[16:17], 0
	s_mov_b64 s[18:19], 0
.LBB0_46:                               ;   Parent Loop BB0_29 Depth=1
                                        ; =>  This Inner Loop Header: Depth=2
	s_wait_xcnt 0x0
	s_add_nc_u64 s[24:25], s[2:3], s[18:19]
	s_add_nc_u64 s[18:19], s[18:19], 1
	global_load_u8 v1, v11, s[24:25]
	s_cmp_lg_u32 s22, s18
	s_wait_loadcnt 0x0
	v_and_b32_e32 v10, 0xffff, v1
	s_delay_alu instid0(VALU_DEP_1) | instskip(SKIP_1) | instid1(VALU_DEP_1)
	v_lshlrev_b64_e32 v[18:19], s16, v[10:11]
	s_add_nc_u64 s[16:17], s[16:17], 8
	v_or_b32_e32 v16, v18, v16
	s_delay_alu instid0(VALU_DEP_2)
	v_or_b32_e32 v17, v19, v17
	s_cbranch_scc1 .LBB0_46
.LBB0_47:                               ;   in Loop: Header=BB0_29 Depth=1
	s_wait_xcnt 0x0
	s_mov_b64 s[16:17], s[2:3]
	s_mov_b32 s21, 0
	s_cbranch_execz .LBB0_49
	s_branch .LBB0_50
.LBB0_48:                               ;   in Loop: Header=BB0_29 Depth=1
	s_wait_xcnt 0x0
	s_add_nc_u64 s[16:17], s[2:3], 8
	s_mov_b32 s21, 0
.LBB0_49:                               ;   in Loop: Header=BB0_29 Depth=1
	global_load_b64 v[16:17], v11, s[2:3]
	s_add_co_i32 s21, s22, -8
.LBB0_50:                               ;   in Loop: Header=BB0_29 Depth=1
	s_delay_alu instid0(SALU_CYCLE_1)
	s_cmp_gt_u32 s21, 7
	s_cbranch_scc1 .LBB0_55
; %bb.51:                               ;   in Loop: Header=BB0_29 Depth=1
	v_mov_b64_e32 v[18:19], 0
	s_cmp_eq_u32 s21, 0
	s_cbranch_scc1 .LBB0_54
; %bb.52:                               ;   in Loop: Header=BB0_29 Depth=1
	s_wait_xcnt 0x0
	s_mov_b64 s[2:3], 0
	s_mov_b64 s[18:19], 0
.LBB0_53:                               ;   Parent Loop BB0_29 Depth=1
                                        ; =>  This Inner Loop Header: Depth=2
	s_wait_xcnt 0x0
	s_add_nc_u64 s[22:23], s[16:17], s[18:19]
	s_add_nc_u64 s[18:19], s[18:19], 1
	global_load_u8 v1, v11, s[22:23]
	s_cmp_lg_u32 s21, s18
	s_wait_loadcnt 0x0
	v_and_b32_e32 v10, 0xffff, v1
	s_delay_alu instid0(VALU_DEP_1) | instskip(SKIP_1) | instid1(VALU_DEP_1)
	v_lshlrev_b64_e32 v[20:21], s2, v[10:11]
	s_add_nc_u64 s[2:3], s[2:3], 8
	v_or_b32_e32 v18, v20, v18
	s_delay_alu instid0(VALU_DEP_2)
	v_or_b32_e32 v19, v21, v19
	s_cbranch_scc1 .LBB0_53
.LBB0_54:                               ;   in Loop: Header=BB0_29 Depth=1
	s_wait_xcnt 0x0
	s_mov_b64 s[2:3], s[16:17]
	s_mov_b32 s22, 0
	s_cbranch_execz .LBB0_56
	s_branch .LBB0_57
.LBB0_55:                               ;   in Loop: Header=BB0_29 Depth=1
	s_wait_xcnt 0x0
	s_add_nc_u64 s[2:3], s[16:17], 8
                                        ; implicit-def: $vgpr18_vgpr19
	s_mov_b32 s22, 0
.LBB0_56:                               ;   in Loop: Header=BB0_29 Depth=1
	global_load_b64 v[18:19], v11, s[16:17]
	s_add_co_i32 s22, s21, -8
.LBB0_57:                               ;   in Loop: Header=BB0_29 Depth=1
	s_delay_alu instid0(SALU_CYCLE_1)
	s_cmp_gt_u32 s22, 7
	s_cbranch_scc1 .LBB0_62
; %bb.58:                               ;   in Loop: Header=BB0_29 Depth=1
	v_mov_b64_e32 v[20:21], 0
	s_cmp_eq_u32 s22, 0
	s_cbranch_scc1 .LBB0_61
; %bb.59:                               ;   in Loop: Header=BB0_29 Depth=1
	s_wait_xcnt 0x0
	s_mov_b64 s[16:17], 0
	s_mov_b64 s[18:19], 0
.LBB0_60:                               ;   Parent Loop BB0_29 Depth=1
                                        ; =>  This Inner Loop Header: Depth=2
	s_wait_xcnt 0x0
	s_add_nc_u64 s[24:25], s[2:3], s[18:19]
	s_add_nc_u64 s[18:19], s[18:19], 1
	global_load_u8 v1, v11, s[24:25]
	s_cmp_lg_u32 s22, s18
	s_wait_loadcnt 0x0
	v_and_b32_e32 v10, 0xffff, v1
	s_delay_alu instid0(VALU_DEP_1) | instskip(SKIP_1) | instid1(VALU_DEP_1)
	v_lshlrev_b64_e32 v[22:23], s16, v[10:11]
	s_add_nc_u64 s[16:17], s[16:17], 8
	v_or_b32_e32 v20, v22, v20
	s_delay_alu instid0(VALU_DEP_2)
	v_or_b32_e32 v21, v23, v21
	s_cbranch_scc1 .LBB0_60
.LBB0_61:                               ;   in Loop: Header=BB0_29 Depth=1
	s_wait_xcnt 0x0
	s_mov_b64 s[16:17], s[2:3]
	s_mov_b32 s21, 0
	s_cbranch_execz .LBB0_63
	s_branch .LBB0_64
.LBB0_62:                               ;   in Loop: Header=BB0_29 Depth=1
	s_wait_xcnt 0x0
	s_add_nc_u64 s[16:17], s[2:3], 8
	s_mov_b32 s21, 0
.LBB0_63:                               ;   in Loop: Header=BB0_29 Depth=1
	global_load_b64 v[20:21], v11, s[2:3]
	s_add_co_i32 s21, s22, -8
.LBB0_64:                               ;   in Loop: Header=BB0_29 Depth=1
	s_delay_alu instid0(SALU_CYCLE_1)
	s_cmp_gt_u32 s21, 7
	s_cbranch_scc1 .LBB0_69
; %bb.65:                               ;   in Loop: Header=BB0_29 Depth=1
	v_mov_b64_e32 v[22:23], 0
	s_cmp_eq_u32 s21, 0
	s_cbranch_scc1 .LBB0_68
; %bb.66:                               ;   in Loop: Header=BB0_29 Depth=1
	s_wait_xcnt 0x0
	s_mov_b64 s[2:3], 0
	s_mov_b64 s[18:19], 0
.LBB0_67:                               ;   Parent Loop BB0_29 Depth=1
                                        ; =>  This Inner Loop Header: Depth=2
	s_wait_xcnt 0x0
	s_add_nc_u64 s[22:23], s[16:17], s[18:19]
	s_add_nc_u64 s[18:19], s[18:19], 1
	global_load_u8 v1, v11, s[22:23]
	s_cmp_lg_u32 s21, s18
	s_wait_loadcnt 0x0
	v_and_b32_e32 v10, 0xffff, v1
	s_delay_alu instid0(VALU_DEP_1) | instskip(SKIP_1) | instid1(VALU_DEP_1)
	v_lshlrev_b64_e32 v[24:25], s2, v[10:11]
	s_add_nc_u64 s[2:3], s[2:3], 8
	v_or_b32_e32 v22, v24, v22
	s_delay_alu instid0(VALU_DEP_2)
	v_or_b32_e32 v23, v25, v23
	s_cbranch_scc1 .LBB0_67
.LBB0_68:                               ;   in Loop: Header=BB0_29 Depth=1
	s_wait_xcnt 0x0
	s_mov_b64 s[2:3], s[16:17]
	s_mov_b32 s22, 0
	s_cbranch_execz .LBB0_70
	s_branch .LBB0_71
.LBB0_69:                               ;   in Loop: Header=BB0_29 Depth=1
	s_wait_xcnt 0x0
	s_add_nc_u64 s[2:3], s[16:17], 8
                                        ; implicit-def: $vgpr22_vgpr23
	s_mov_b32 s22, 0
.LBB0_70:                               ;   in Loop: Header=BB0_29 Depth=1
	global_load_b64 v[22:23], v11, s[16:17]
	s_add_co_i32 s22, s21, -8
.LBB0_71:                               ;   in Loop: Header=BB0_29 Depth=1
	s_delay_alu instid0(SALU_CYCLE_1)
	s_cmp_gt_u32 s22, 7
	s_cbranch_scc1 .LBB0_76
; %bb.72:                               ;   in Loop: Header=BB0_29 Depth=1
	v_mov_b64_e32 v[24:25], 0
	s_cmp_eq_u32 s22, 0
	s_cbranch_scc1 .LBB0_75
; %bb.73:                               ;   in Loop: Header=BB0_29 Depth=1
	s_wait_xcnt 0x0
	s_mov_b64 s[16:17], 0
	s_mov_b64 s[18:19], s[2:3]
.LBB0_74:                               ;   Parent Loop BB0_29 Depth=1
                                        ; =>  This Inner Loop Header: Depth=2
	global_load_u8 v1, v11, s[18:19]
	s_add_co_i32 s22, s22, -1
	s_wait_xcnt 0x0
	s_add_nc_u64 s[18:19], s[18:19], 1
	s_cmp_lg_u32 s22, 0
	s_wait_loadcnt 0x0
	v_and_b32_e32 v10, 0xffff, v1
	s_delay_alu instid0(VALU_DEP_1) | instskip(SKIP_1) | instid1(VALU_DEP_1)
	v_lshlrev_b64_e32 v[26:27], s16, v[10:11]
	s_add_nc_u64 s[16:17], s[16:17], 8
	v_or_b32_e32 v24, v26, v24
	s_delay_alu instid0(VALU_DEP_2)
	v_or_b32_e32 v25, v27, v25
	s_cbranch_scc1 .LBB0_74
.LBB0_75:                               ;   in Loop: Header=BB0_29 Depth=1
	s_wait_xcnt 0x0
	s_cbranch_execz .LBB0_77
	s_branch .LBB0_78
.LBB0_76:                               ;   in Loop: Header=BB0_29 Depth=1
	s_wait_xcnt 0x0
.LBB0_77:                               ;   in Loop: Header=BB0_29 Depth=1
	global_load_b64 v[24:25], v11, s[2:3]
.LBB0_78:                               ;   in Loop: Header=BB0_29 Depth=1
	s_wait_xcnt 0x0
	v_readfirstlane_b32 s2, v38
	v_mov_b64_e32 v[30:31], 0
	s_delay_alu instid0(VALU_DEP_2)
	v_cmp_eq_u32_e64 s2, s2, v38
	s_and_saveexec_b32 s3, s2
	s_cbranch_execz .LBB0_84
; %bb.79:                               ;   in Loop: Header=BB0_29 Depth=1
	global_load_b64 v[28:29], v11, s[4:5] offset:24 scope:SCOPE_SYS
	s_wait_loadcnt 0x0
	global_inv scope:SCOPE_SYS
	s_clause 0x1
	global_load_b64 v[26:27], v11, s[4:5] offset:40
	global_load_b64 v[30:31], v11, s[4:5]
	s_mov_b32 s16, exec_lo
	s_wait_loadcnt 0x1
	v_and_b32_e32 v26, v26, v28
	v_and_b32_e32 v27, v27, v29
	s_delay_alu instid0(VALU_DEP_1) | instskip(SKIP_1) | instid1(VALU_DEP_1)
	v_mul_u64_e32 v[26:27], 24, v[26:27]
	s_wait_loadcnt 0x0
	v_add_nc_u64_e32 v[26:27], v[30:31], v[26:27]
	global_load_b64 v[26:27], v[26:27], off scope:SCOPE_SYS
	s_wait_xcnt 0x0
	s_wait_loadcnt 0x0
	global_atomic_cmpswap_b64 v[30:31], v11, v[26:29], s[4:5] offset:24 th:TH_ATOMIC_RETURN scope:SCOPE_SYS
	s_wait_loadcnt 0x0
	global_inv scope:SCOPE_SYS
	s_wait_xcnt 0x0
	v_cmpx_ne_u64_e64 v[30:31], v[28:29]
	s_cbranch_execz .LBB0_83
; %bb.80:                               ;   in Loop: Header=BB0_29 Depth=1
	s_mov_b32 s17, 0
.LBB0_81:                               ;   Parent Loop BB0_29 Depth=1
                                        ; =>  This Inner Loop Header: Depth=2
	s_sleep 1
	s_clause 0x1
	global_load_b64 v[26:27], v11, s[4:5] offset:40
	global_load_b64 v[32:33], v11, s[4:5]
	v_mov_b64_e32 v[28:29], v[30:31]
	s_wait_loadcnt 0x1
	s_delay_alu instid0(VALU_DEP_1) | instskip(SKIP_1) | instid1(VALU_DEP_1)
	v_and_b32_e32 v1, v26, v28
	s_wait_loadcnt 0x0
	v_mad_nc_u64_u32 v[30:31], v1, 24, v[32:33]
	s_delay_alu instid0(VALU_DEP_3) | instskip(NEXT) | instid1(VALU_DEP_1)
	v_and_b32_e32 v1, v27, v29
	v_mad_u32 v31, v1, 24, v31
	global_load_b64 v[26:27], v[30:31], off scope:SCOPE_SYS
	s_wait_xcnt 0x0
	s_wait_loadcnt 0x0
	global_atomic_cmpswap_b64 v[30:31], v11, v[26:29], s[4:5] offset:24 th:TH_ATOMIC_RETURN scope:SCOPE_SYS
	s_wait_loadcnt 0x0
	global_inv scope:SCOPE_SYS
	v_cmp_eq_u64_e32 vcc_lo, v[30:31], v[28:29]
	s_or_b32 s17, vcc_lo, s17
	s_wait_xcnt 0x0
	s_and_not1_b32 exec_lo, exec_lo, s17
	s_cbranch_execnz .LBB0_81
; %bb.82:                               ;   in Loop: Header=BB0_29 Depth=1
	s_or_b32 exec_lo, exec_lo, s17
.LBB0_83:                               ;   in Loop: Header=BB0_29 Depth=1
	s_delay_alu instid0(SALU_CYCLE_1)
	s_or_b32 exec_lo, exec_lo, s16
.LBB0_84:                               ;   in Loop: Header=BB0_29 Depth=1
	s_delay_alu instid0(SALU_CYCLE_1)
	s_or_b32 exec_lo, exec_lo, s3
	s_clause 0x1
	global_load_b64 v[32:33], v11, s[4:5] offset:40
	global_load_b128 v[26:29], v11, s[4:5]
	v_readfirstlane_b32 s16, v30
	v_readfirstlane_b32 s17, v31
	s_mov_b32 s3, exec_lo
	s_wait_loadcnt 0x1
	v_and_b32_e32 v32, s16, v32
	v_and_b32_e32 v33, s17, v33
	s_delay_alu instid0(VALU_DEP_1) | instskip(SKIP_1) | instid1(VALU_DEP_1)
	v_mul_u64_e32 v[30:31], 24, v[32:33]
	s_wait_loadcnt 0x0
	v_add_nc_u64_e32 v[30:31], v[26:27], v[30:31]
	s_wait_xcnt 0x0
	s_and_saveexec_b32 s18, s2
	s_cbranch_execz .LBB0_86
; %bb.85:                               ;   in Loop: Header=BB0_29 Depth=1
	v_mov_b32_e32 v10, s3
	global_store_b128 v[30:31], v[10:13], off offset:8
.LBB0_86:                               ;   in Loop: Header=BB0_29 Depth=1
	s_wait_xcnt 0x0
	s_or_b32 exec_lo, exec_lo, s18
	v_cmp_lt_u64_e64 vcc_lo, s[12:13], 57
	v_lshlrev_b64_e32 v[32:33], 12, v[32:33]
	v_and_b32_e32 v3, 0xffffff1f, v6
	s_lshl_b32 s3, s14, 2
	s_delay_alu instid0(SALU_CYCLE_1) | instskip(SKIP_1) | instid1(VALU_DEP_3)
	s_add_co_i32 s3, s3, 28
	v_cndmask_b32_e32 v1, 0, v0, vcc_lo
	v_add_nc_u64_e32 v[28:29], v[28:29], v[32:33]
	s_delay_alu instid0(VALU_DEP_2) | instskip(NEXT) | instid1(VALU_DEP_2)
	v_or_b32_e32 v1, v3, v1
	v_readfirstlane_b32 s18, v28
	s_delay_alu instid0(VALU_DEP_3) | instskip(NEXT) | instid1(VALU_DEP_3)
	v_readfirstlane_b32 s19, v29
	v_and_or_b32 v6, 0x1e0, s3, v1
	s_clause 0x3
	global_store_b128 v34, v[6:9], s[18:19]
	global_store_b128 v34, v[14:17], s[18:19] offset:16
	global_store_b128 v34, v[18:21], s[18:19] offset:32
	global_store_b128 v34, v[22:25], s[18:19] offset:48
	s_wait_xcnt 0x0
	s_and_saveexec_b32 s3, s2
	s_cbranch_execz .LBB0_94
; %bb.87:                               ;   in Loop: Header=BB0_29 Depth=1
	s_clause 0x1
	global_load_b64 v[18:19], v11, s[4:5] offset:32 scope:SCOPE_SYS
	global_load_b64 v[6:7], v11, s[4:5] offset:40
	s_mov_b32 s18, exec_lo
	v_dual_mov_b32 v16, s16 :: v_dual_mov_b32 v17, s17
	s_wait_loadcnt 0x0
	v_and_b32_e32 v7, s17, v7
	v_and_b32_e32 v6, s16, v6
	s_delay_alu instid0(VALU_DEP_1) | instskip(NEXT) | instid1(VALU_DEP_1)
	v_mul_u64_e32 v[6:7], 24, v[6:7]
	v_add_nc_u64_e32 v[14:15], v[26:27], v[6:7]
	global_store_b64 v[14:15], v[18:19], off
	global_wb scope:SCOPE_SYS
	s_wait_storecnt 0x0
	s_wait_xcnt 0x0
	global_atomic_cmpswap_b64 v[8:9], v11, v[16:19], s[4:5] offset:32 th:TH_ATOMIC_RETURN scope:SCOPE_SYS
	s_wait_loadcnt 0x0
	v_cmpx_ne_u64_e64 v[8:9], v[18:19]
	s_cbranch_execz .LBB0_90
; %bb.88:                               ;   in Loop: Header=BB0_29 Depth=1
	s_mov_b32 s19, 0
.LBB0_89:                               ;   Parent Loop BB0_29 Depth=1
                                        ; =>  This Inner Loop Header: Depth=2
	v_dual_mov_b32 v6, s16 :: v_dual_mov_b32 v7, s17
	s_sleep 1
	global_store_b64 v[14:15], v[8:9], off
	global_wb scope:SCOPE_SYS
	s_wait_storecnt 0x0
	s_wait_xcnt 0x0
	global_atomic_cmpswap_b64 v[6:7], v11, v[6:9], s[4:5] offset:32 th:TH_ATOMIC_RETURN scope:SCOPE_SYS
	s_wait_loadcnt 0x0
	v_cmp_eq_u64_e32 vcc_lo, v[6:7], v[8:9]
	v_mov_b64_e32 v[8:9], v[6:7]
	s_or_b32 s19, vcc_lo, s19
	s_delay_alu instid0(SALU_CYCLE_1)
	s_and_not1_b32 exec_lo, exec_lo, s19
	s_cbranch_execnz .LBB0_89
.LBB0_90:                               ;   in Loop: Header=BB0_29 Depth=1
	s_or_b32 exec_lo, exec_lo, s18
	global_load_b64 v[6:7], v11, s[4:5] offset:16
	s_mov_b32 s19, exec_lo
	s_mov_b32 s18, exec_lo
	v_mbcnt_lo_u32_b32 v1, s19, 0
	s_wait_xcnt 0x0
	s_delay_alu instid0(VALU_DEP_1)
	v_cmpx_eq_u32_e32 0, v1
	s_cbranch_execz .LBB0_92
; %bb.91:                               ;   in Loop: Header=BB0_29 Depth=1
	s_bcnt1_i32_b32 s19, s19
	s_delay_alu instid0(SALU_CYCLE_1)
	v_mov_b32_e32 v10, s19
	global_wb scope:SCOPE_SYS
	s_wait_loadcnt 0x0
	s_wait_storecnt 0x0
	global_atomic_add_u64 v[6:7], v[10:11], off offset:8 scope:SCOPE_SYS
.LBB0_92:                               ;   in Loop: Header=BB0_29 Depth=1
	s_wait_xcnt 0x0
	s_or_b32 exec_lo, exec_lo, s18
	s_wait_loadcnt 0x0
	global_load_b64 v[8:9], v[6:7], off offset:16
	s_wait_loadcnt 0x0
	v_cmp_eq_u64_e32 vcc_lo, 0, v[8:9]
	s_cbranch_vccnz .LBB0_94
; %bb.93:                               ;   in Loop: Header=BB0_29 Depth=1
	global_load_b32 v10, v[6:7], off offset:24
	s_wait_loadcnt 0x0
	v_readfirstlane_b32 s18, v10
	global_wb scope:SCOPE_SYS
	s_wait_storecnt 0x0
	s_wait_xcnt 0x0
	global_store_b64 v[8:9], v[10:11], off scope:SCOPE_SYS
	s_and_b32 m0, s18, 0xffffff
	s_sendmsg sendmsg(MSG_INTERRUPT)
.LBB0_94:                               ;   in Loop: Header=BB0_29 Depth=1
	s_wait_xcnt 0x0
	s_or_b32 exec_lo, exec_lo, s3
	v_mov_b32_e32 v35, v11
	s_delay_alu instid0(VALU_DEP_1)
	v_add_nc_u64_e32 v[6:7], v[28:29], v[34:35]
	s_branch .LBB0_98
.LBB0_95:                               ;   in Loop: Header=BB0_98 Depth=2
	s_wait_xcnt 0x0
	s_or_b32 exec_lo, exec_lo, s3
	s_delay_alu instid0(VALU_DEP_1)
	v_readfirstlane_b32 s3, v1
	s_cmp_eq_u32 s3, 0
	s_cbranch_scc1 .LBB0_97
; %bb.96:                               ;   in Loop: Header=BB0_98 Depth=2
	s_sleep 1
	s_cbranch_execnz .LBB0_98
	s_branch .LBB0_100
.LBB0_97:                               ;   in Loop: Header=BB0_29 Depth=1
	s_branch .LBB0_100
.LBB0_98:                               ;   Parent Loop BB0_29 Depth=1
                                        ; =>  This Inner Loop Header: Depth=2
	v_mov_b32_e32 v1, 1
	s_and_saveexec_b32 s3, s2
	s_cbranch_execz .LBB0_95
; %bb.99:                               ;   in Loop: Header=BB0_98 Depth=2
	global_load_b32 v1, v[30:31], off offset:20 scope:SCOPE_SYS
	s_wait_loadcnt 0x0
	global_inv scope:SCOPE_SYS
	v_and_b32_e32 v1, 1, v1
	s_branch .LBB0_95
.LBB0_100:                              ;   in Loop: Header=BB0_29 Depth=1
	global_load_b64 v[6:7], v[6:7], off
	s_wait_xcnt 0x0
	s_and_saveexec_b32 s18, s2
	s_cbranch_execz .LBB0_28
; %bb.101:                              ;   in Loop: Header=BB0_29 Depth=1
	s_clause 0x2
	global_load_b64 v[8:9], v11, s[4:5] offset:40
	global_load_b64 v[18:19], v11, s[4:5] offset:24 scope:SCOPE_SYS
	global_load_b64 v[14:15], v11, s[4:5]
	s_wait_loadcnt 0x2
	v_readfirstlane_b32 s22, v8
	v_readfirstlane_b32 s23, v9
	s_add_nc_u64 s[2:3], s[22:23], 1
	s_delay_alu instid0(SALU_CYCLE_1) | instskip(NEXT) | instid1(SALU_CYCLE_1)
	s_add_nc_u64 s[16:17], s[2:3], s[16:17]
	s_cmp_eq_u64 s[16:17], 0
	s_cselect_b32 s3, s3, s17
	s_cselect_b32 s2, s2, s16
	s_delay_alu instid0(SALU_CYCLE_1) | instskip(SKIP_1) | instid1(SALU_CYCLE_1)
	v_dual_mov_b32 v17, s3 :: v_dual_mov_b32 v16, s2
	s_and_b64 s[16:17], s[2:3], s[22:23]
	s_mul_u64 s[16:17], s[16:17], 24
	s_wait_loadcnt 0x0
	v_add_nc_u64_e32 v[8:9], s[16:17], v[14:15]
	global_store_b64 v[8:9], v[18:19], off
	global_wb scope:SCOPE_SYS
	s_wait_storecnt 0x0
	s_wait_xcnt 0x0
	global_atomic_cmpswap_b64 v[16:17], v11, v[16:19], s[4:5] offset:24 th:TH_ATOMIC_RETURN scope:SCOPE_SYS
	s_wait_loadcnt 0x0
	v_cmp_ne_u64_e32 vcc_lo, v[16:17], v[18:19]
	s_and_b32 exec_lo, exec_lo, vcc_lo
	s_cbranch_execz .LBB0_28
; %bb.102:                              ;   in Loop: Header=BB0_29 Depth=1
	s_mov_b32 s16, 0
.LBB0_103:                              ;   Parent Loop BB0_29 Depth=1
                                        ; =>  This Inner Loop Header: Depth=2
	v_dual_mov_b32 v14, s2 :: v_dual_mov_b32 v15, s3
	s_sleep 1
	global_store_b64 v[8:9], v[16:17], off
	global_wb scope:SCOPE_SYS
	s_wait_storecnt 0x0
	s_wait_xcnt 0x0
	global_atomic_cmpswap_b64 v[14:15], v11, v[14:17], s[4:5] offset:24 th:TH_ATOMIC_RETURN scope:SCOPE_SYS
	s_wait_loadcnt 0x0
	v_cmp_eq_u64_e32 vcc_lo, v[14:15], v[16:17]
	v_mov_b64_e32 v[16:17], v[14:15]
	s_or_b32 s16, vcc_lo, s16
	s_delay_alu instid0(SALU_CYCLE_1)
	s_and_not1_b32 exec_lo, exec_lo, s16
	s_cbranch_execnz .LBB0_103
	s_branch .LBB0_28
.LBB0_104:
	s_branch .LBB0_133
.LBB0_105:
                                        ; implicit-def: $vgpr6_vgpr7
	s_cbranch_execz .LBB0_133
; %bb.106:
	v_readfirstlane_b32 s2, v38
	v_mov_b64_e32 v[0:1], 0
	s_delay_alu instid0(VALU_DEP_2)
	v_cmp_eq_u32_e64 s2, s2, v38
	s_and_saveexec_b32 s3, s2
	s_cbranch_execz .LBB0_112
; %bb.107:
	v_mov_b32_e32 v3, 0
	s_mov_b32 s10, exec_lo
	global_load_b64 v[8:9], v3, s[4:5] offset:24 scope:SCOPE_SYS
	s_wait_loadcnt 0x0
	global_inv scope:SCOPE_SYS
	s_clause 0x1
	global_load_b64 v[0:1], v3, s[4:5] offset:40
	global_load_b64 v[6:7], v3, s[4:5]
	s_wait_loadcnt 0x1
	v_and_b32_e32 v0, v0, v8
	v_and_b32_e32 v1, v1, v9
	s_delay_alu instid0(VALU_DEP_1) | instskip(SKIP_1) | instid1(VALU_DEP_1)
	v_mul_u64_e32 v[0:1], 24, v[0:1]
	s_wait_loadcnt 0x0
	v_add_nc_u64_e32 v[0:1], v[6:7], v[0:1]
	global_load_b64 v[6:7], v[0:1], off scope:SCOPE_SYS
	s_wait_xcnt 0x0
	s_wait_loadcnt 0x0
	global_atomic_cmpswap_b64 v[0:1], v3, v[6:9], s[4:5] offset:24 th:TH_ATOMIC_RETURN scope:SCOPE_SYS
	s_wait_loadcnt 0x0
	global_inv scope:SCOPE_SYS
	s_wait_xcnt 0x0
	v_cmpx_ne_u64_e64 v[0:1], v[8:9]
	s_cbranch_execz .LBB0_111
; %bb.108:
	s_mov_b32 s11, 0
.LBB0_109:                              ; =>This Inner Loop Header: Depth=1
	s_sleep 1
	s_clause 0x1
	global_load_b64 v[6:7], v3, s[4:5] offset:40
	global_load_b64 v[10:11], v3, s[4:5]
	v_mov_b64_e32 v[8:9], v[0:1]
	s_wait_loadcnt 0x1
	s_delay_alu instid0(VALU_DEP_1) | instskip(NEXT) | instid1(VALU_DEP_2)
	v_and_b32_e32 v0, v6, v8
	v_and_b32_e32 v6, v7, v9
	s_wait_loadcnt 0x0
	s_delay_alu instid0(VALU_DEP_2) | instskip(NEXT) | instid1(VALU_DEP_1)
	v_mad_nc_u64_u32 v[0:1], v0, 24, v[10:11]
	v_mad_u32 v1, v6, 24, v1
	global_load_b64 v[6:7], v[0:1], off scope:SCOPE_SYS
	s_wait_xcnt 0x0
	s_wait_loadcnt 0x0
	global_atomic_cmpswap_b64 v[0:1], v3, v[6:9], s[4:5] offset:24 th:TH_ATOMIC_RETURN scope:SCOPE_SYS
	s_wait_loadcnt 0x0
	global_inv scope:SCOPE_SYS
	v_cmp_eq_u64_e32 vcc_lo, v[0:1], v[8:9]
	s_or_b32 s11, vcc_lo, s11
	s_wait_xcnt 0x0
	s_and_not1_b32 exec_lo, exec_lo, s11
	s_cbranch_execnz .LBB0_109
; %bb.110:
	s_or_b32 exec_lo, exec_lo, s11
.LBB0_111:
	s_delay_alu instid0(SALU_CYCLE_1)
	s_or_b32 exec_lo, exec_lo, s10
.LBB0_112:
	s_delay_alu instid0(SALU_CYCLE_1)
	s_or_b32 exec_lo, exec_lo, s3
	v_readfirstlane_b32 s10, v0
	v_mov_b32_e32 v35, 0
	v_readfirstlane_b32 s11, v1
	s_mov_b32 s3, exec_lo
	s_wait_loadcnt 0x0
	s_clause 0x1
	global_load_b64 v[6:7], v35, s[4:5] offset:40
	global_load_b128 v[8:11], v35, s[4:5]
	s_wait_loadcnt 0x1
	v_and_b32_e32 v6, s10, v6
	v_and_b32_e32 v7, s11, v7
	s_delay_alu instid0(VALU_DEP_1) | instskip(SKIP_1) | instid1(VALU_DEP_1)
	v_mul_u64_e32 v[0:1], 24, v[6:7]
	s_wait_loadcnt 0x0
	v_add_nc_u64_e32 v[0:1], v[8:9], v[0:1]
	s_wait_xcnt 0x0
	s_and_saveexec_b32 s12, s2
	s_cbranch_execz .LBB0_114
; %bb.113:
	v_mov_b64_e32 v[14:15], 0x100000002
	v_dual_mov_b32 v12, s3 :: v_dual_mov_b32 v13, v35
	global_store_b128 v[0:1], v[12:15], off offset:8
.LBB0_114:
	s_wait_xcnt 0x0
	s_or_b32 exec_lo, exec_lo, s12
	v_lshlrev_b64_e32 v[6:7], 12, v[6:7]
	s_mov_b32 s12, 0
	v_and_or_b32 v4, 0xffffff1f, v4, 32
	s_mov_b32 s13, s12
	s_mov_b32 s14, s12
	;; [unrolled: 1-line block ×3, first 2 shown]
	v_mov_b64_e32 v[12:13], s[12:13]
	v_add_nc_u64_e32 v[10:11], v[10:11], v[6:7]
	v_mov_b64_e32 v[14:15], s[14:15]
	v_dual_mov_b32 v6, v35 :: v_dual_mov_b32 v7, v35
	s_delay_alu instid0(VALU_DEP_3) | instskip(NEXT) | instid1(VALU_DEP_4)
	v_readfirstlane_b32 s16, v10
	v_readfirstlane_b32 s17, v11
	s_clause 0x3
	global_store_b128 v34, v[4:7], s[16:17]
	global_store_b128 v34, v[12:15], s[16:17] offset:16
	global_store_b128 v34, v[12:15], s[16:17] offset:32
	;; [unrolled: 1-line block ×3, first 2 shown]
	s_wait_xcnt 0x0
	s_and_saveexec_b32 s3, s2
	s_cbranch_execz .LBB0_122
; %bb.115:
	v_dual_mov_b32 v3, 0 :: v_dual_mov_b32 v13, s11
	s_mov_b32 s12, exec_lo
	s_clause 0x1
	global_load_b64 v[14:15], v3, s[4:5] offset:32 scope:SCOPE_SYS
	global_load_b64 v[4:5], v3, s[4:5] offset:40
	s_wait_loadcnt 0x0
	v_dual_mov_b32 v12, s10 :: v_dual_bitop2_b32 v5, s11, v5 bitop3:0x40
	v_and_b32_e32 v4, s10, v4
	s_delay_alu instid0(VALU_DEP_1) | instskip(NEXT) | instid1(VALU_DEP_1)
	v_mul_u64_e32 v[4:5], 24, v[4:5]
	v_add_nc_u64_e32 v[8:9], v[8:9], v[4:5]
	global_store_b64 v[8:9], v[14:15], off
	global_wb scope:SCOPE_SYS
	s_wait_storecnt 0x0
	s_wait_xcnt 0x0
	global_atomic_cmpswap_b64 v[6:7], v3, v[12:15], s[4:5] offset:32 th:TH_ATOMIC_RETURN scope:SCOPE_SYS
	s_wait_loadcnt 0x0
	v_cmpx_ne_u64_e64 v[6:7], v[14:15]
	s_cbranch_execz .LBB0_118
; %bb.116:
	s_mov_b32 s13, 0
.LBB0_117:                              ; =>This Inner Loop Header: Depth=1
	v_dual_mov_b32 v4, s10 :: v_dual_mov_b32 v5, s11
	s_sleep 1
	global_store_b64 v[8:9], v[6:7], off
	global_wb scope:SCOPE_SYS
	s_wait_storecnt 0x0
	s_wait_xcnt 0x0
	global_atomic_cmpswap_b64 v[4:5], v3, v[4:7], s[4:5] offset:32 th:TH_ATOMIC_RETURN scope:SCOPE_SYS
	s_wait_loadcnt 0x0
	v_cmp_eq_u64_e32 vcc_lo, v[4:5], v[6:7]
	v_mov_b64_e32 v[6:7], v[4:5]
	s_or_b32 s13, vcc_lo, s13
	s_delay_alu instid0(SALU_CYCLE_1)
	s_and_not1_b32 exec_lo, exec_lo, s13
	s_cbranch_execnz .LBB0_117
.LBB0_118:
	s_or_b32 exec_lo, exec_lo, s12
	v_mov_b32_e32 v7, 0
	s_mov_b32 s13, exec_lo
	s_mov_b32 s12, exec_lo
	v_mbcnt_lo_u32_b32 v3, s13, 0
	global_load_b64 v[4:5], v7, s[4:5] offset:16
	s_wait_xcnt 0x0
	v_cmpx_eq_u32_e32 0, v3
	s_cbranch_execz .LBB0_120
; %bb.119:
	s_bcnt1_i32_b32 s13, s13
	s_delay_alu instid0(SALU_CYCLE_1)
	v_mov_b32_e32 v6, s13
	global_wb scope:SCOPE_SYS
	s_wait_loadcnt 0x0
	s_wait_storecnt 0x0
	global_atomic_add_u64 v[4:5], v[6:7], off offset:8 scope:SCOPE_SYS
.LBB0_120:
	s_wait_xcnt 0x0
	s_or_b32 exec_lo, exec_lo, s12
	s_wait_loadcnt 0x0
	global_load_b64 v[6:7], v[4:5], off offset:16
	s_wait_loadcnt 0x0
	v_cmp_eq_u64_e32 vcc_lo, 0, v[6:7]
	s_cbranch_vccnz .LBB0_122
; %bb.121:
	global_load_b32 v4, v[4:5], off offset:24
	s_wait_xcnt 0x0
	v_mov_b32_e32 v5, 0
	s_wait_loadcnt 0x0
	v_readfirstlane_b32 s12, v4
	global_wb scope:SCOPE_SYS
	s_wait_storecnt 0x0
	global_store_b64 v[6:7], v[4:5], off scope:SCOPE_SYS
	s_and_b32 m0, s12, 0xffffff
	s_sendmsg sendmsg(MSG_INTERRUPT)
.LBB0_122:
	s_wait_xcnt 0x0
	s_or_b32 exec_lo, exec_lo, s3
	v_add_nc_u64_e32 v[4:5], v[10:11], v[34:35]
	s_branch .LBB0_126
.LBB0_123:                              ;   in Loop: Header=BB0_126 Depth=1
	s_wait_xcnt 0x0
	s_or_b32 exec_lo, exec_lo, s3
	s_delay_alu instid0(VALU_DEP_1)
	v_readfirstlane_b32 s3, v3
	s_cmp_eq_u32 s3, 0
	s_cbranch_scc1 .LBB0_125
; %bb.124:                              ;   in Loop: Header=BB0_126 Depth=1
	s_sleep 1
	s_cbranch_execnz .LBB0_126
	s_branch .LBB0_128
.LBB0_125:
	s_branch .LBB0_128
.LBB0_126:                              ; =>This Inner Loop Header: Depth=1
	v_mov_b32_e32 v3, 1
	s_and_saveexec_b32 s3, s2
	s_cbranch_execz .LBB0_123
; %bb.127:                              ;   in Loop: Header=BB0_126 Depth=1
	global_load_b32 v3, v[0:1], off offset:20 scope:SCOPE_SYS
	s_wait_loadcnt 0x0
	global_inv scope:SCOPE_SYS
	v_and_b32_e32 v3, 1, v3
	s_branch .LBB0_123
.LBB0_128:
	global_load_b64 v[6:7], v[4:5], off
	s_wait_xcnt 0x0
	s_and_saveexec_b32 s12, s2
	s_cbranch_execz .LBB0_132
; %bb.129:
	v_mov_b32_e32 v3, 0
	s_clause 0x2
	global_load_b64 v[0:1], v3, s[4:5] offset:40
	global_load_b64 v[12:13], v3, s[4:5] offset:24 scope:SCOPE_SYS
	global_load_b64 v[4:5], v3, s[4:5]
	s_wait_loadcnt 0x2
	v_readfirstlane_b32 s14, v0
	v_readfirstlane_b32 s15, v1
	s_add_nc_u64 s[2:3], s[14:15], 1
	s_delay_alu instid0(SALU_CYCLE_1) | instskip(NEXT) | instid1(SALU_CYCLE_1)
	s_add_nc_u64 s[10:11], s[2:3], s[10:11]
	s_cmp_eq_u64 s[10:11], 0
	s_cselect_b32 s3, s3, s11
	s_cselect_b32 s2, s2, s10
	v_mov_b32_e32 v11, s3
	s_and_b64 s[10:11], s[2:3], s[14:15]
	v_mov_b32_e32 v10, s2
	s_mul_u64 s[10:11], s[10:11], 24
	s_wait_loadcnt 0x0
	v_add_nc_u64_e32 v[0:1], s[10:11], v[4:5]
	global_store_b64 v[0:1], v[12:13], off
	global_wb scope:SCOPE_SYS
	s_wait_storecnt 0x0
	s_wait_xcnt 0x0
	global_atomic_cmpswap_b64 v[10:11], v3, v[10:13], s[4:5] offset:24 th:TH_ATOMIC_RETURN scope:SCOPE_SYS
	s_wait_loadcnt 0x0
	v_cmp_ne_u64_e32 vcc_lo, v[10:11], v[12:13]
	s_and_b32 exec_lo, exec_lo, vcc_lo
	s_cbranch_execz .LBB0_132
; %bb.130:
	s_mov_b32 s10, 0
.LBB0_131:                              ; =>This Inner Loop Header: Depth=1
	v_dual_mov_b32 v8, s2 :: v_dual_mov_b32 v9, s3
	s_sleep 1
	global_store_b64 v[0:1], v[10:11], off
	global_wb scope:SCOPE_SYS
	s_wait_storecnt 0x0
	s_wait_xcnt 0x0
	global_atomic_cmpswap_b64 v[4:5], v3, v[8:11], s[4:5] offset:24 th:TH_ATOMIC_RETURN scope:SCOPE_SYS
	s_wait_loadcnt 0x0
	v_cmp_eq_u64_e32 vcc_lo, v[4:5], v[10:11]
	v_mov_b64_e32 v[10:11], v[4:5]
	s_or_b32 s10, vcc_lo, s10
	s_delay_alu instid0(SALU_CYCLE_1)
	s_and_not1_b32 exec_lo, exec_lo, s10
	s_cbranch_execnz .LBB0_131
.LBB0_132:
	s_or_b32 exec_lo, exec_lo, s12
.LBB0_133:
	v_readfirstlane_b32 s2, v38
	v_mov_b64_e32 v[0:1], 0
	s_delay_alu instid0(VALU_DEP_2)
	v_cmp_eq_u32_e64 s2, s2, v38
	s_and_saveexec_b32 s3, s2
	s_cbranch_execz .LBB0_139
; %bb.134:
	v_mov_b32_e32 v3, 0
	s_mov_b32 s10, exec_lo
	global_load_b64 v[10:11], v3, s[4:5] offset:24 scope:SCOPE_SYS
	s_wait_loadcnt 0x0
	global_inv scope:SCOPE_SYS
	s_clause 0x1
	global_load_b64 v[0:1], v3, s[4:5] offset:40
	global_load_b64 v[4:5], v3, s[4:5]
	s_wait_loadcnt 0x1
	v_and_b32_e32 v0, v0, v10
	v_and_b32_e32 v1, v1, v11
	s_delay_alu instid0(VALU_DEP_1) | instskip(SKIP_1) | instid1(VALU_DEP_1)
	v_mul_u64_e32 v[0:1], 24, v[0:1]
	s_wait_loadcnt 0x0
	v_add_nc_u64_e32 v[0:1], v[4:5], v[0:1]
	global_load_b64 v[8:9], v[0:1], off scope:SCOPE_SYS
	s_wait_xcnt 0x0
	s_wait_loadcnt 0x0
	global_atomic_cmpswap_b64 v[0:1], v3, v[8:11], s[4:5] offset:24 th:TH_ATOMIC_RETURN scope:SCOPE_SYS
	s_wait_loadcnt 0x0
	global_inv scope:SCOPE_SYS
	s_wait_xcnt 0x0
	v_cmpx_ne_u64_e64 v[0:1], v[10:11]
	s_cbranch_execz .LBB0_138
; %bb.135:
	s_mov_b32 s11, 0
.LBB0_136:                              ; =>This Inner Loop Header: Depth=1
	s_sleep 1
	s_clause 0x1
	global_load_b64 v[4:5], v3, s[4:5] offset:40
	global_load_b64 v[8:9], v3, s[4:5]
	v_mov_b64_e32 v[10:11], v[0:1]
	s_wait_loadcnt 0x1
	s_delay_alu instid0(VALU_DEP_1) | instskip(NEXT) | instid1(VALU_DEP_2)
	v_and_b32_e32 v0, v4, v10
	v_and_b32_e32 v4, v5, v11
	s_wait_loadcnt 0x0
	s_delay_alu instid0(VALU_DEP_2) | instskip(NEXT) | instid1(VALU_DEP_1)
	v_mad_nc_u64_u32 v[0:1], v0, 24, v[8:9]
	v_mad_u32 v1, v4, 24, v1
	global_load_b64 v[8:9], v[0:1], off scope:SCOPE_SYS
	s_wait_xcnt 0x0
	s_wait_loadcnt 0x0
	global_atomic_cmpswap_b64 v[0:1], v3, v[8:11], s[4:5] offset:24 th:TH_ATOMIC_RETURN scope:SCOPE_SYS
	s_wait_loadcnt 0x0
	global_inv scope:SCOPE_SYS
	v_cmp_eq_u64_e32 vcc_lo, v[0:1], v[10:11]
	s_or_b32 s11, vcc_lo, s11
	s_wait_xcnt 0x0
	s_and_not1_b32 exec_lo, exec_lo, s11
	s_cbranch_execnz .LBB0_136
; %bb.137:
	s_or_b32 exec_lo, exec_lo, s11
.LBB0_138:
	s_delay_alu instid0(SALU_CYCLE_1)
	s_or_b32 exec_lo, exec_lo, s10
.LBB0_139:
	s_delay_alu instid0(SALU_CYCLE_1)
	s_or_b32 exec_lo, exec_lo, s3
	v_readfirstlane_b32 s10, v0
	v_mov_b32_e32 v35, 0
	v_readfirstlane_b32 s11, v1
	s_mov_b32 s3, exec_lo
	s_wait_loadcnt 0x0
	s_clause 0x1
	global_load_b64 v[4:5], v35, s[4:5] offset:40
	global_load_b128 v[10:13], v35, s[4:5]
	s_wait_loadcnt 0x1
	v_and_b32_e32 v4, s10, v4
	v_and_b32_e32 v5, s11, v5
	s_delay_alu instid0(VALU_DEP_1) | instskip(SKIP_1) | instid1(VALU_DEP_1)
	v_mul_u64_e32 v[0:1], 24, v[4:5]
	s_wait_loadcnt 0x0
	v_add_nc_u64_e32 v[0:1], v[10:11], v[0:1]
	s_wait_xcnt 0x0
	s_and_saveexec_b32 s12, s2
	s_cbranch_execz .LBB0_141
; %bb.140:
	v_mov_b64_e32 v[16:17], 0x100000002
	v_dual_mov_b32 v14, s3 :: v_dual_mov_b32 v15, v35
	global_store_b128 v[0:1], v[14:17], off offset:8
.LBB0_141:
	s_wait_xcnt 0x0
	s_or_b32 exec_lo, exec_lo, s12
	s_load_b32 s18, s[0:1], 0x0
	v_lshlrev_b64_e32 v[4:5], 12, v[4:5]
	s_mov_b32 s12, 0
	v_and_or_b32 v6, 0xffffff1f, v6, 32
	s_mov_b32 s14, s12
	s_mov_b32 s15, s12
	;; [unrolled: 1-line block ×3, first 2 shown]
	v_mov_b64_e32 v[16:17], s[14:15]
	v_add_nc_u64_e32 v[12:13], v[12:13], v[4:5]
	v_mov_b64_e32 v[14:15], s[12:13]
	v_mov_b32_e32 v9, v35
	s_delay_alu instid0(VALU_DEP_3) | instskip(NEXT) | instid1(VALU_DEP_4)
	v_readfirstlane_b32 s16, v12
	v_readfirstlane_b32 s17, v13
	s_wait_kmcnt 0x0
	v_mov_b32_e32 v8, s18
	s_clause 0x3
	global_store_b128 v34, v[6:9], s[16:17]
	global_store_b128 v34, v[14:17], s[16:17] offset:16
	global_store_b128 v34, v[14:17], s[16:17] offset:32
	global_store_b128 v34, v[14:17], s[16:17] offset:48
	s_wait_xcnt 0x0
	s_and_saveexec_b32 s3, s2
	s_cbranch_execz .LBB0_149
; %bb.142:
	v_dual_mov_b32 v3, 0 :: v_dual_mov_b32 v15, s11
	s_mov_b32 s12, exec_lo
	s_clause 0x1
	global_load_b64 v[16:17], v3, s[4:5] offset:32 scope:SCOPE_SYS
	global_load_b64 v[4:5], v3, s[4:5] offset:40
	s_wait_loadcnt 0x0
	v_dual_mov_b32 v14, s10 :: v_dual_bitop2_b32 v5, s11, v5 bitop3:0x40
	v_and_b32_e32 v4, s10, v4
	s_delay_alu instid0(VALU_DEP_1) | instskip(NEXT) | instid1(VALU_DEP_1)
	v_mul_u64_e32 v[4:5], 24, v[4:5]
	v_add_nc_u64_e32 v[8:9], v[10:11], v[4:5]
	global_store_b64 v[8:9], v[16:17], off
	global_wb scope:SCOPE_SYS
	s_wait_storecnt 0x0
	s_wait_xcnt 0x0
	global_atomic_cmpswap_b64 v[6:7], v3, v[14:17], s[4:5] offset:32 th:TH_ATOMIC_RETURN scope:SCOPE_SYS
	s_wait_loadcnt 0x0
	v_cmpx_ne_u64_e64 v[6:7], v[16:17]
	s_cbranch_execz .LBB0_145
; %bb.143:
	s_mov_b32 s13, 0
.LBB0_144:                              ; =>This Inner Loop Header: Depth=1
	v_dual_mov_b32 v4, s10 :: v_dual_mov_b32 v5, s11
	s_sleep 1
	global_store_b64 v[8:9], v[6:7], off
	global_wb scope:SCOPE_SYS
	s_wait_storecnt 0x0
	s_wait_xcnt 0x0
	global_atomic_cmpswap_b64 v[4:5], v3, v[4:7], s[4:5] offset:32 th:TH_ATOMIC_RETURN scope:SCOPE_SYS
	s_wait_loadcnt 0x0
	v_cmp_eq_u64_e32 vcc_lo, v[4:5], v[6:7]
	v_mov_b64_e32 v[6:7], v[4:5]
	s_or_b32 s13, vcc_lo, s13
	s_delay_alu instid0(SALU_CYCLE_1)
	s_and_not1_b32 exec_lo, exec_lo, s13
	s_cbranch_execnz .LBB0_144
.LBB0_145:
	s_or_b32 exec_lo, exec_lo, s12
	v_mov_b32_e32 v7, 0
	s_mov_b32 s13, exec_lo
	s_mov_b32 s12, exec_lo
	v_mbcnt_lo_u32_b32 v3, s13, 0
	global_load_b64 v[4:5], v7, s[4:5] offset:16
	s_wait_xcnt 0x0
	v_cmpx_eq_u32_e32 0, v3
	s_cbranch_execz .LBB0_147
; %bb.146:
	s_bcnt1_i32_b32 s13, s13
	s_delay_alu instid0(SALU_CYCLE_1)
	v_mov_b32_e32 v6, s13
	global_wb scope:SCOPE_SYS
	s_wait_loadcnt 0x0
	s_wait_storecnt 0x0
	global_atomic_add_u64 v[4:5], v[6:7], off offset:8 scope:SCOPE_SYS
.LBB0_147:
	s_wait_xcnt 0x0
	s_or_b32 exec_lo, exec_lo, s12
	s_wait_loadcnt 0x0
	global_load_b64 v[6:7], v[4:5], off offset:16
	s_wait_loadcnt 0x0
	v_cmp_eq_u64_e32 vcc_lo, 0, v[6:7]
	s_cbranch_vccnz .LBB0_149
; %bb.148:
	global_load_b32 v4, v[4:5], off offset:24
	s_wait_xcnt 0x0
	v_mov_b32_e32 v5, 0
	s_wait_loadcnt 0x0
	v_readfirstlane_b32 s12, v4
	global_wb scope:SCOPE_SYS
	s_wait_storecnt 0x0
	global_store_b64 v[6:7], v[4:5], off scope:SCOPE_SYS
	s_and_b32 m0, s12, 0xffffff
	s_sendmsg sendmsg(MSG_INTERRUPT)
.LBB0_149:
	s_wait_xcnt 0x0
	s_or_b32 exec_lo, exec_lo, s3
	v_add_nc_u64_e32 v[4:5], v[12:13], v[34:35]
	s_branch .LBB0_153
.LBB0_150:                              ;   in Loop: Header=BB0_153 Depth=1
	s_wait_xcnt 0x0
	s_or_b32 exec_lo, exec_lo, s3
	s_delay_alu instid0(VALU_DEP_1)
	v_readfirstlane_b32 s3, v3
	s_cmp_eq_u32 s3, 0
	s_cbranch_scc1 .LBB0_152
; %bb.151:                              ;   in Loop: Header=BB0_153 Depth=1
	s_sleep 1
	s_cbranch_execnz .LBB0_153
	s_branch .LBB0_155
.LBB0_152:
	s_branch .LBB0_155
.LBB0_153:                              ; =>This Inner Loop Header: Depth=1
	v_mov_b32_e32 v3, 1
	s_and_saveexec_b32 s3, s2
	s_cbranch_execz .LBB0_150
; %bb.154:                              ;   in Loop: Header=BB0_153 Depth=1
	global_load_b32 v3, v[0:1], off offset:20 scope:SCOPE_SYS
	s_wait_loadcnt 0x0
	global_inv scope:SCOPE_SYS
	v_and_b32_e32 v3, 1, v3
	s_branch .LBB0_150
.LBB0_155:
	global_load_b64 v[4:5], v[4:5], off
	s_wait_xcnt 0x0
	s_and_saveexec_b32 s12, s2
	s_cbranch_execz .LBB0_159
; %bb.156:
	v_mov_b32_e32 v3, 0
	s_clause 0x2
	global_load_b64 v[0:1], v3, s[4:5] offset:40
	global_load_b64 v[10:11], v3, s[4:5] offset:24 scope:SCOPE_SYS
	global_load_b64 v[6:7], v3, s[4:5]
	s_wait_loadcnt 0x2
	v_readfirstlane_b32 s14, v0
	v_readfirstlane_b32 s15, v1
	s_add_nc_u64 s[2:3], s[14:15], 1
	s_delay_alu instid0(SALU_CYCLE_1) | instskip(NEXT) | instid1(SALU_CYCLE_1)
	s_add_nc_u64 s[10:11], s[2:3], s[10:11]
	s_cmp_eq_u64 s[10:11], 0
	s_cselect_b32 s3, s3, s11
	s_cselect_b32 s2, s2, s10
	v_mov_b32_e32 v9, s3
	s_and_b64 s[10:11], s[2:3], s[14:15]
	v_mov_b32_e32 v8, s2
	s_mul_u64 s[10:11], s[10:11], 24
	s_wait_loadcnt 0x0
	v_add_nc_u64_e32 v[0:1], s[10:11], v[6:7]
	global_store_b64 v[0:1], v[10:11], off
	global_wb scope:SCOPE_SYS
	s_wait_storecnt 0x0
	s_wait_xcnt 0x0
	global_atomic_cmpswap_b64 v[8:9], v3, v[8:11], s[4:5] offset:24 th:TH_ATOMIC_RETURN scope:SCOPE_SYS
	s_wait_loadcnt 0x0
	v_cmp_ne_u64_e32 vcc_lo, v[8:9], v[10:11]
	s_and_b32 exec_lo, exec_lo, vcc_lo
	s_cbranch_execz .LBB0_159
; %bb.157:
	s_mov_b32 s10, 0
.LBB0_158:                              ; =>This Inner Loop Header: Depth=1
	v_dual_mov_b32 v6, s2 :: v_dual_mov_b32 v7, s3
	s_sleep 1
	global_store_b64 v[0:1], v[8:9], off
	global_wb scope:SCOPE_SYS
	s_wait_storecnt 0x0
	s_wait_xcnt 0x0
	global_atomic_cmpswap_b64 v[6:7], v3, v[6:9], s[4:5] offset:24 th:TH_ATOMIC_RETURN scope:SCOPE_SYS
	s_wait_loadcnt 0x0
	v_cmp_eq_u64_e32 vcc_lo, v[6:7], v[8:9]
	v_mov_b64_e32 v[8:9], v[6:7]
	s_or_b32 s10, vcc_lo, s10
	s_delay_alu instid0(SALU_CYCLE_1)
	s_and_not1_b32 exec_lo, exec_lo, s10
	s_cbranch_execnz .LBB0_158
.LBB0_159:
	s_or_b32 exec_lo, exec_lo, s12
	v_readfirstlane_b32 s2, v38
	v_mov_b64_e32 v[0:1], 0
	s_delay_alu instid0(VALU_DEP_2)
	v_cmp_eq_u32_e64 s2, s2, v38
	s_and_saveexec_b32 s3, s2
	s_cbranch_execz .LBB0_165
; %bb.160:
	v_mov_b32_e32 v3, 0
	s_mov_b32 s10, exec_lo
	global_load_b64 v[8:9], v3, s[4:5] offset:24 scope:SCOPE_SYS
	s_wait_loadcnt 0x0
	global_inv scope:SCOPE_SYS
	s_clause 0x1
	global_load_b64 v[0:1], v3, s[4:5] offset:40
	global_load_b64 v[6:7], v3, s[4:5]
	s_wait_loadcnt 0x1
	v_and_b32_e32 v0, v0, v8
	v_and_b32_e32 v1, v1, v9
	s_delay_alu instid0(VALU_DEP_1) | instskip(SKIP_1) | instid1(VALU_DEP_1)
	v_mul_u64_e32 v[0:1], 24, v[0:1]
	s_wait_loadcnt 0x0
	v_add_nc_u64_e32 v[0:1], v[6:7], v[0:1]
	global_load_b64 v[6:7], v[0:1], off scope:SCOPE_SYS
	s_wait_xcnt 0x0
	s_wait_loadcnt 0x0
	global_atomic_cmpswap_b64 v[0:1], v3, v[6:9], s[4:5] offset:24 th:TH_ATOMIC_RETURN scope:SCOPE_SYS
	s_wait_loadcnt 0x0
	global_inv scope:SCOPE_SYS
	s_wait_xcnt 0x0
	v_cmpx_ne_u64_e64 v[0:1], v[8:9]
	s_cbranch_execz .LBB0_164
; %bb.161:
	s_mov_b32 s11, 0
.LBB0_162:                              ; =>This Inner Loop Header: Depth=1
	s_sleep 1
	s_clause 0x1
	global_load_b64 v[6:7], v3, s[4:5] offset:40
	global_load_b64 v[10:11], v3, s[4:5]
	v_mov_b64_e32 v[8:9], v[0:1]
	s_wait_loadcnt 0x1
	s_delay_alu instid0(VALU_DEP_1) | instskip(NEXT) | instid1(VALU_DEP_2)
	v_and_b32_e32 v0, v6, v8
	v_and_b32_e32 v6, v7, v9
	s_wait_loadcnt 0x0
	s_delay_alu instid0(VALU_DEP_2) | instskip(NEXT) | instid1(VALU_DEP_1)
	v_mad_nc_u64_u32 v[0:1], v0, 24, v[10:11]
	v_mad_u32 v1, v6, 24, v1
	global_load_b64 v[6:7], v[0:1], off scope:SCOPE_SYS
	s_wait_xcnt 0x0
	s_wait_loadcnt 0x0
	global_atomic_cmpswap_b64 v[0:1], v3, v[6:9], s[4:5] offset:24 th:TH_ATOMIC_RETURN scope:SCOPE_SYS
	s_wait_loadcnt 0x0
	global_inv scope:SCOPE_SYS
	v_cmp_eq_u64_e32 vcc_lo, v[0:1], v[8:9]
	s_or_b32 s11, vcc_lo, s11
	s_wait_xcnt 0x0
	s_and_not1_b32 exec_lo, exec_lo, s11
	s_cbranch_execnz .LBB0_162
; %bb.163:
	s_or_b32 exec_lo, exec_lo, s11
.LBB0_164:
	s_delay_alu instid0(SALU_CYCLE_1)
	s_or_b32 exec_lo, exec_lo, s10
.LBB0_165:
	s_delay_alu instid0(SALU_CYCLE_1)
	s_or_b32 exec_lo, exec_lo, s3
	v_readfirstlane_b32 s10, v0
	v_mov_b32_e32 v35, 0
	v_readfirstlane_b32 s11, v1
	s_mov_b32 s3, exec_lo
	s_clause 0x1
	global_load_b64 v[6:7], v35, s[4:5] offset:40
	global_load_b128 v[8:11], v35, s[4:5]
	s_wait_loadcnt 0x1
	v_and_b32_e32 v6, s10, v6
	v_and_b32_e32 v7, s11, v7
	s_delay_alu instid0(VALU_DEP_1) | instskip(SKIP_1) | instid1(VALU_DEP_1)
	v_mul_u64_e32 v[0:1], 24, v[6:7]
	s_wait_loadcnt 0x0
	v_add_nc_u64_e32 v[0:1], v[8:9], v[0:1]
	s_wait_xcnt 0x0
	s_and_saveexec_b32 s12, s2
	s_cbranch_execz .LBB0_167
; %bb.166:
	v_mov_b64_e32 v[14:15], 0x100000002
	v_dual_mov_b32 v12, s3 :: v_dual_mov_b32 v13, v35
	global_store_b128 v[0:1], v[12:15], off offset:8
.LBB0_167:
	s_wait_xcnt 0x0
	s_or_b32 exec_lo, exec_lo, s12
	s_load_b32 s19, s[0:1], 0x10
	v_lshlrev_b64_e32 v[6:7], 12, v[6:7]
	s_mov_b32 s12, 0
	v_and_or_b32 v4, 0xffffff1f, v4, 32
	s_mov_b32 s13, s12
	s_mov_b32 s14, s12
	;; [unrolled: 1-line block ×3, first 2 shown]
	v_mov_b64_e32 v[12:13], s[12:13]
	v_add_nc_u64_e32 v[10:11], v[10:11], v[6:7]
	v_mov_b64_e32 v[14:15], s[14:15]
	v_mov_b32_e32 v7, v35
	s_wait_xcnt 0x0
	s_delay_alu instid0(VALU_DEP_3) | instskip(NEXT) | instid1(VALU_DEP_4)
	v_readfirstlane_b32 s0, v10
	v_readfirstlane_b32 s1, v11
	s_wait_kmcnt 0x0
	v_mov_b32_e32 v6, s19
	s_clause 0x3
	global_store_b128 v34, v[4:7], s[0:1]
	global_store_b128 v34, v[12:15], s[0:1] offset:16
	global_store_b128 v34, v[12:15], s[0:1] offset:32
	;; [unrolled: 1-line block ×3, first 2 shown]
	s_wait_xcnt 0x0
	s_and_saveexec_b32 s0, s2
	s_cbranch_execz .LBB0_175
; %bb.168:
	v_dual_mov_b32 v3, 0 :: v_dual_mov_b32 v13, s11
	s_mov_b32 s1, exec_lo
	s_clause 0x1
	global_load_b64 v[14:15], v3, s[4:5] offset:32 scope:SCOPE_SYS
	global_load_b64 v[4:5], v3, s[4:5] offset:40
	s_wait_loadcnt 0x0
	v_dual_mov_b32 v12, s10 :: v_dual_bitop2_b32 v5, s11, v5 bitop3:0x40
	v_and_b32_e32 v4, s10, v4
	s_delay_alu instid0(VALU_DEP_1) | instskip(NEXT) | instid1(VALU_DEP_1)
	v_mul_u64_e32 v[4:5], 24, v[4:5]
	v_add_nc_u64_e32 v[8:9], v[8:9], v[4:5]
	global_store_b64 v[8:9], v[14:15], off
	global_wb scope:SCOPE_SYS
	s_wait_storecnt 0x0
	s_wait_xcnt 0x0
	global_atomic_cmpswap_b64 v[6:7], v3, v[12:15], s[4:5] offset:32 th:TH_ATOMIC_RETURN scope:SCOPE_SYS
	s_wait_loadcnt 0x0
	v_cmpx_ne_u64_e64 v[6:7], v[14:15]
	s_cbranch_execz .LBB0_171
; %bb.169:
	s_mov_b32 s3, 0
.LBB0_170:                              ; =>This Inner Loop Header: Depth=1
	v_dual_mov_b32 v4, s10 :: v_dual_mov_b32 v5, s11
	s_sleep 1
	global_store_b64 v[8:9], v[6:7], off
	global_wb scope:SCOPE_SYS
	s_wait_storecnt 0x0
	s_wait_xcnt 0x0
	global_atomic_cmpswap_b64 v[4:5], v3, v[4:7], s[4:5] offset:32 th:TH_ATOMIC_RETURN scope:SCOPE_SYS
	s_wait_loadcnt 0x0
	v_cmp_eq_u64_e32 vcc_lo, v[4:5], v[6:7]
	v_mov_b64_e32 v[6:7], v[4:5]
	s_or_b32 s3, vcc_lo, s3
	s_delay_alu instid0(SALU_CYCLE_1)
	s_and_not1_b32 exec_lo, exec_lo, s3
	s_cbranch_execnz .LBB0_170
.LBB0_171:
	s_or_b32 exec_lo, exec_lo, s1
	v_mov_b32_e32 v7, 0
	s_mov_b32 s3, exec_lo
	s_mov_b32 s1, exec_lo
	v_mbcnt_lo_u32_b32 v3, s3, 0
	global_load_b64 v[4:5], v7, s[4:5] offset:16
	s_wait_xcnt 0x0
	v_cmpx_eq_u32_e32 0, v3
	s_cbranch_execz .LBB0_173
; %bb.172:
	s_bcnt1_i32_b32 s3, s3
	s_delay_alu instid0(SALU_CYCLE_1)
	v_mov_b32_e32 v6, s3
	global_wb scope:SCOPE_SYS
	s_wait_loadcnt 0x0
	s_wait_storecnt 0x0
	global_atomic_add_u64 v[4:5], v[6:7], off offset:8 scope:SCOPE_SYS
.LBB0_173:
	s_wait_xcnt 0x0
	s_or_b32 exec_lo, exec_lo, s1
	s_wait_loadcnt 0x0
	global_load_b64 v[6:7], v[4:5], off offset:16
	s_wait_loadcnt 0x0
	v_cmp_eq_u64_e32 vcc_lo, 0, v[6:7]
	s_cbranch_vccnz .LBB0_175
; %bb.174:
	global_load_b32 v4, v[4:5], off offset:24
	s_wait_xcnt 0x0
	v_mov_b32_e32 v5, 0
	s_wait_loadcnt 0x0
	v_readfirstlane_b32 s1, v4
	global_wb scope:SCOPE_SYS
	s_wait_storecnt 0x0
	global_store_b64 v[6:7], v[4:5], off scope:SCOPE_SYS
	s_and_b32 m0, s1, 0xffffff
	s_sendmsg sendmsg(MSG_INTERRUPT)
.LBB0_175:
	s_wait_xcnt 0x0
	s_or_b32 exec_lo, exec_lo, s0
	v_add_nc_u64_e32 v[4:5], v[10:11], v[34:35]
	s_branch .LBB0_179
.LBB0_176:                              ;   in Loop: Header=BB0_179 Depth=1
	s_wait_xcnt 0x0
	s_or_b32 exec_lo, exec_lo, s0
	s_delay_alu instid0(VALU_DEP_1)
	v_readfirstlane_b32 s0, v3
	s_cmp_eq_u32 s0, 0
	s_cbranch_scc1 .LBB0_178
; %bb.177:                              ;   in Loop: Header=BB0_179 Depth=1
	s_sleep 1
	s_cbranch_execnz .LBB0_179
	s_branch .LBB0_181
.LBB0_178:
	s_branch .LBB0_181
.LBB0_179:                              ; =>This Inner Loop Header: Depth=1
	v_mov_b32_e32 v3, 1
	s_and_saveexec_b32 s0, s2
	s_cbranch_execz .LBB0_176
; %bb.180:                              ;   in Loop: Header=BB0_179 Depth=1
	global_load_b32 v3, v[0:1], off offset:20 scope:SCOPE_SYS
	s_wait_loadcnt 0x0
	global_inv scope:SCOPE_SYS
	v_and_b32_e32 v3, 1, v3
	s_branch .LBB0_176
.LBB0_181:
	global_load_b64 v[0:1], v[4:5], off
	s_wait_xcnt 0x0
	s_and_saveexec_b32 s3, s2
	s_cbranch_execz .LBB0_185
; %bb.182:
	v_mov_b32_e32 v3, 0
	s_clause 0x2
	global_load_b64 v[4:5], v3, s[4:5] offset:40
	global_load_b64 v[12:13], v3, s[4:5] offset:24 scope:SCOPE_SYS
	global_load_b64 v[6:7], v3, s[4:5]
	s_wait_loadcnt 0x2
	v_readfirstlane_b32 s12, v4
	v_readfirstlane_b32 s13, v5
	s_add_nc_u64 s[0:1], s[12:13], 1
	s_delay_alu instid0(SALU_CYCLE_1) | instskip(NEXT) | instid1(SALU_CYCLE_1)
	s_add_nc_u64 s[10:11], s[0:1], s[10:11]
	s_cmp_eq_u64 s[10:11], 0
	s_cselect_b32 s1, s1, s11
	s_cselect_b32 s0, s0, s10
	v_mov_b32_e32 v11, s1
	s_and_b64 s[10:11], s[0:1], s[12:13]
	v_mov_b32_e32 v10, s0
	s_mul_u64 s[10:11], s[10:11], 24
	s_wait_loadcnt 0x0
	v_add_nc_u64_e32 v[8:9], s[10:11], v[6:7]
	global_store_b64 v[8:9], v[12:13], off
	global_wb scope:SCOPE_SYS
	s_wait_storecnt 0x0
	s_wait_xcnt 0x0
	global_atomic_cmpswap_b64 v[6:7], v3, v[10:13], s[4:5] offset:24 th:TH_ATOMIC_RETURN scope:SCOPE_SYS
	s_wait_loadcnt 0x0
	v_cmp_ne_u64_e32 vcc_lo, v[6:7], v[12:13]
	s_and_b32 exec_lo, exec_lo, vcc_lo
	s_cbranch_execz .LBB0_185
; %bb.183:
	s_mov_b32 s2, 0
.LBB0_184:                              ; =>This Inner Loop Header: Depth=1
	v_dual_mov_b32 v4, s0 :: v_dual_mov_b32 v5, s1
	s_sleep 1
	global_store_b64 v[8:9], v[6:7], off
	global_wb scope:SCOPE_SYS
	s_wait_storecnt 0x0
	s_wait_xcnt 0x0
	global_atomic_cmpswap_b64 v[4:5], v3, v[4:7], s[4:5] offset:24 th:TH_ATOMIC_RETURN scope:SCOPE_SYS
	s_wait_loadcnt 0x0
	v_cmp_eq_u64_e32 vcc_lo, v[4:5], v[6:7]
	v_mov_b64_e32 v[6:7], v[4:5]
	s_or_b32 s2, vcc_lo, s2
	s_delay_alu instid0(SALU_CYCLE_1)
	s_and_not1_b32 exec_lo, exec_lo, s2
	s_cbranch_execnz .LBB0_184
.LBB0_185:
	s_or_b32 exec_lo, exec_lo, s3
	v_readfirstlane_b32 s0, v38
	v_mov_b64_e32 v[8:9], 0
	s_delay_alu instid0(VALU_DEP_2)
	v_cmp_eq_u32_e64 s0, s0, v38
	s_and_saveexec_b32 s1, s0
	s_cbranch_execz .LBB0_191
; %bb.186:
	v_mov_b32_e32 v3, 0
	s_mov_b32 s2, exec_lo
	global_load_b64 v[6:7], v3, s[4:5] offset:24 scope:SCOPE_SYS
	s_wait_loadcnt 0x0
	global_inv scope:SCOPE_SYS
	s_clause 0x1
	global_load_b64 v[4:5], v3, s[4:5] offset:40
	global_load_b64 v[8:9], v3, s[4:5]
	s_wait_loadcnt 0x1
	v_and_b32_e32 v4, v4, v6
	v_and_b32_e32 v5, v5, v7
	s_delay_alu instid0(VALU_DEP_1) | instskip(SKIP_1) | instid1(VALU_DEP_1)
	v_mul_u64_e32 v[4:5], 24, v[4:5]
	s_wait_loadcnt 0x0
	v_add_nc_u64_e32 v[4:5], v[8:9], v[4:5]
	global_load_b64 v[4:5], v[4:5], off scope:SCOPE_SYS
	s_wait_xcnt 0x0
	s_wait_loadcnt 0x0
	global_atomic_cmpswap_b64 v[8:9], v3, v[4:7], s[4:5] offset:24 th:TH_ATOMIC_RETURN scope:SCOPE_SYS
	s_wait_loadcnt 0x0
	global_inv scope:SCOPE_SYS
	s_wait_xcnt 0x0
	v_cmpx_ne_u64_e64 v[8:9], v[6:7]
	s_cbranch_execz .LBB0_190
; %bb.187:
	s_mov_b32 s3, 0
.LBB0_188:                              ; =>This Inner Loop Header: Depth=1
	s_sleep 1
	s_clause 0x1
	global_load_b64 v[4:5], v3, s[4:5] offset:40
	global_load_b64 v[10:11], v3, s[4:5]
	v_mov_b64_e32 v[6:7], v[8:9]
	s_wait_loadcnt 0x1
	s_delay_alu instid0(VALU_DEP_1) | instskip(SKIP_1) | instid1(VALU_DEP_1)
	v_and_b32_e32 v4, v4, v6
	s_wait_loadcnt 0x0
	v_mad_nc_u64_u32 v[8:9], v4, 24, v[10:11]
	s_delay_alu instid0(VALU_DEP_3) | instskip(NEXT) | instid1(VALU_DEP_1)
	v_and_b32_e32 v4, v5, v7
	v_mad_u32 v9, v4, 24, v9
	global_load_b64 v[4:5], v[8:9], off scope:SCOPE_SYS
	s_wait_xcnt 0x0
	s_wait_loadcnt 0x0
	global_atomic_cmpswap_b64 v[8:9], v3, v[4:7], s[4:5] offset:24 th:TH_ATOMIC_RETURN scope:SCOPE_SYS
	s_wait_loadcnt 0x0
	global_inv scope:SCOPE_SYS
	v_cmp_eq_u64_e32 vcc_lo, v[8:9], v[6:7]
	s_or_b32 s3, vcc_lo, s3
	s_wait_xcnt 0x0
	s_and_not1_b32 exec_lo, exec_lo, s3
	s_cbranch_execnz .LBB0_188
; %bb.189:
	s_or_b32 exec_lo, exec_lo, s3
.LBB0_190:
	s_delay_alu instid0(SALU_CYCLE_1)
	s_or_b32 exec_lo, exec_lo, s2
.LBB0_191:
	s_delay_alu instid0(SALU_CYCLE_1)
	s_or_b32 exec_lo, exec_lo, s1
	v_readfirstlane_b32 s2, v8
	v_mov_b32_e32 v35, 0
	v_readfirstlane_b32 s3, v9
	s_mov_b32 s1, exec_lo
	s_clause 0x1
	global_load_b64 v[10:11], v35, s[4:5] offset:40
	global_load_b128 v[4:7], v35, s[4:5]
	s_wait_loadcnt 0x1
	v_and_b32_e32 v10, s2, v10
	v_and_b32_e32 v11, s3, v11
	s_delay_alu instid0(VALU_DEP_1) | instskip(SKIP_1) | instid1(VALU_DEP_1)
	v_mul_u64_e32 v[8:9], 24, v[10:11]
	s_wait_loadcnt 0x0
	v_add_nc_u64_e32 v[8:9], v[4:5], v[8:9]
	s_wait_xcnt 0x0
	s_and_saveexec_b32 s10, s0
	s_cbranch_execz .LBB0_193
; %bb.192:
	v_mov_b64_e32 v[14:15], 0x100000002
	v_dual_mov_b32 v12, s1 :: v_dual_mov_b32 v13, v35
	global_store_b128 v[8:9], v[12:15], off offset:8
.LBB0_193:
	s_wait_xcnt 0x0
	s_or_b32 exec_lo, exec_lo, s10
	v_lshlrev_b64_e32 v[10:11], 12, v[10:11]
	s_mov_b32 s12, 0
	v_and_or_b32 v0, 0xffffff1f, v0, 32
	s_mov_b32 s13, s12
	s_mov_b32 s14, s12
	;; [unrolled: 1-line block ×3, first 2 shown]
	v_mov_b32_e32 v3, v35
	v_add_nc_u64_e32 v[6:7], v[6:7], v[10:11]
	v_mov_b64_e32 v[10:11], s[12:13]
	v_mov_b64_e32 v[12:13], s[14:15]
	s_delay_alu instid0(VALU_DEP_3) | instskip(NEXT) | instid1(VALU_DEP_4)
	v_readfirstlane_b32 s10, v6
	v_readfirstlane_b32 s11, v7
	s_wait_dscnt 0x0
	s_clause 0x3
	global_store_b128 v34, v[0:3], s[10:11]
	global_store_b128 v34, v[10:13], s[10:11] offset:16
	global_store_b128 v34, v[10:13], s[10:11] offset:32
	;; [unrolled: 1-line block ×3, first 2 shown]
	s_wait_xcnt 0x0
	s_and_saveexec_b32 s1, s0
	s_cbranch_execz .LBB0_201
; %bb.194:
	v_dual_mov_b32 v10, 0 :: v_dual_mov_b32 v13, s3
	s_mov_b32 s10, exec_lo
	s_clause 0x1
	global_load_b64 v[14:15], v10, s[4:5] offset:32 scope:SCOPE_SYS
	global_load_b64 v[0:1], v10, s[4:5] offset:40
	s_wait_loadcnt 0x0
	v_dual_mov_b32 v12, s2 :: v_dual_bitop2_b32 v1, s3, v1 bitop3:0x40
	v_and_b32_e32 v0, s2, v0
	s_delay_alu instid0(VALU_DEP_1) | instskip(NEXT) | instid1(VALU_DEP_1)
	v_mul_u64_e32 v[0:1], 24, v[0:1]
	v_add_nc_u64_e32 v[4:5], v[4:5], v[0:1]
	global_store_b64 v[4:5], v[14:15], off
	global_wb scope:SCOPE_SYS
	s_wait_storecnt 0x0
	s_wait_xcnt 0x0
	global_atomic_cmpswap_b64 v[2:3], v10, v[12:15], s[4:5] offset:32 th:TH_ATOMIC_RETURN scope:SCOPE_SYS
	s_wait_loadcnt 0x0
	v_cmpx_ne_u64_e64 v[2:3], v[14:15]
	s_cbranch_execz .LBB0_197
; %bb.195:
	s_mov_b32 s11, 0
.LBB0_196:                              ; =>This Inner Loop Header: Depth=1
	v_dual_mov_b32 v0, s2 :: v_dual_mov_b32 v1, s3
	s_sleep 1
	global_store_b64 v[4:5], v[2:3], off
	global_wb scope:SCOPE_SYS
	s_wait_storecnt 0x0
	s_wait_xcnt 0x0
	global_atomic_cmpswap_b64 v[0:1], v10, v[0:3], s[4:5] offset:32 th:TH_ATOMIC_RETURN scope:SCOPE_SYS
	s_wait_loadcnt 0x0
	v_cmp_eq_u64_e32 vcc_lo, v[0:1], v[2:3]
	v_mov_b64_e32 v[2:3], v[0:1]
	s_or_b32 s11, vcc_lo, s11
	s_delay_alu instid0(SALU_CYCLE_1)
	s_and_not1_b32 exec_lo, exec_lo, s11
	s_cbranch_execnz .LBB0_196
.LBB0_197:
	s_or_b32 exec_lo, exec_lo, s10
	v_mov_b32_e32 v3, 0
	s_mov_b32 s11, exec_lo
	s_mov_b32 s10, exec_lo
	v_mbcnt_lo_u32_b32 v2, s11, 0
	global_load_b64 v[0:1], v3, s[4:5] offset:16
	s_wait_xcnt 0x0
	v_cmpx_eq_u32_e32 0, v2
	s_cbranch_execz .LBB0_199
; %bb.198:
	s_bcnt1_i32_b32 s11, s11
	s_delay_alu instid0(SALU_CYCLE_1)
	v_mov_b32_e32 v2, s11
	global_wb scope:SCOPE_SYS
	s_wait_loadcnt 0x0
	s_wait_storecnt 0x0
	global_atomic_add_u64 v[0:1], v[2:3], off offset:8 scope:SCOPE_SYS
.LBB0_199:
	s_wait_xcnt 0x0
	s_or_b32 exec_lo, exec_lo, s10
	s_wait_loadcnt 0x0
	global_load_b64 v[2:3], v[0:1], off offset:16
	s_wait_loadcnt 0x0
	v_cmp_eq_u64_e32 vcc_lo, 0, v[2:3]
	s_cbranch_vccnz .LBB0_201
; %bb.200:
	global_load_b32 v0, v[0:1], off offset:24
	s_wait_xcnt 0x0
	v_mov_b32_e32 v1, 0
	s_wait_loadcnt 0x0
	v_readfirstlane_b32 s10, v0
	global_wb scope:SCOPE_SYS
	s_wait_storecnt 0x0
	global_store_b64 v[2:3], v[0:1], off scope:SCOPE_SYS
	s_and_b32 m0, s10, 0xffffff
	s_sendmsg sendmsg(MSG_INTERRUPT)
.LBB0_201:
	s_wait_xcnt 0x0
	s_or_b32 exec_lo, exec_lo, s1
	v_add_nc_u64_e32 v[0:1], v[6:7], v[34:35]
	s_branch .LBB0_205
.LBB0_202:                              ;   in Loop: Header=BB0_205 Depth=1
	s_wait_xcnt 0x0
	s_or_b32 exec_lo, exec_lo, s1
	s_delay_alu instid0(VALU_DEP_1)
	v_readfirstlane_b32 s1, v2
	s_cmp_eq_u32 s1, 0
	s_cbranch_scc1 .LBB0_204
; %bb.203:                              ;   in Loop: Header=BB0_205 Depth=1
	s_sleep 1
	s_cbranch_execnz .LBB0_205
	s_branch .LBB0_207
.LBB0_204:
	s_branch .LBB0_207
.LBB0_205:                              ; =>This Inner Loop Header: Depth=1
	v_mov_b32_e32 v2, 1
	s_and_saveexec_b32 s1, s0
	s_cbranch_execz .LBB0_202
; %bb.206:                              ;   in Loop: Header=BB0_205 Depth=1
	global_load_b32 v2, v[8:9], off offset:20 scope:SCOPE_SYS
	s_wait_loadcnt 0x0
	global_inv scope:SCOPE_SYS
	v_and_b32_e32 v2, 1, v2
	s_branch .LBB0_202
.LBB0_207:
	global_load_b64 v[0:1], v[0:1], off
	s_wait_xcnt 0x0
	s_and_saveexec_b32 s10, s0
	s_cbranch_execz .LBB0_211
; %bb.208:
	v_mov_b32_e32 v8, 0
	s_clause 0x2
	global_load_b64 v[2:3], v8, s[4:5] offset:40
	global_load_b64 v[12:13], v8, s[4:5] offset:24 scope:SCOPE_SYS
	global_load_b64 v[4:5], v8, s[4:5]
	s_wait_loadcnt 0x2
	v_readfirstlane_b32 s12, v2
	v_readfirstlane_b32 s13, v3
	s_add_nc_u64 s[0:1], s[12:13], 1
	s_delay_alu instid0(SALU_CYCLE_1) | instskip(NEXT) | instid1(SALU_CYCLE_1)
	s_add_nc_u64 s[2:3], s[0:1], s[2:3]
	s_cmp_eq_u64 s[2:3], 0
	s_cselect_b32 s1, s1, s3
	s_cselect_b32 s0, s0, s2
	v_mov_b32_e32 v11, s1
	s_and_b64 s[2:3], s[0:1], s[12:13]
	v_mov_b32_e32 v10, s0
	s_mul_u64 s[2:3], s[2:3], 24
	s_wait_loadcnt 0x0
	v_add_nc_u64_e32 v[6:7], s[2:3], v[4:5]
	global_store_b64 v[6:7], v[12:13], off
	global_wb scope:SCOPE_SYS
	s_wait_storecnt 0x0
	s_wait_xcnt 0x0
	global_atomic_cmpswap_b64 v[4:5], v8, v[10:13], s[4:5] offset:24 th:TH_ATOMIC_RETURN scope:SCOPE_SYS
	s_wait_loadcnt 0x0
	v_cmp_ne_u64_e32 vcc_lo, v[4:5], v[12:13]
	s_and_b32 exec_lo, exec_lo, vcc_lo
	s_cbranch_execz .LBB0_211
; %bb.209:
	s_mov_b32 s2, 0
.LBB0_210:                              ; =>This Inner Loop Header: Depth=1
	v_dual_mov_b32 v2, s0 :: v_dual_mov_b32 v3, s1
	s_sleep 1
	global_store_b64 v[6:7], v[4:5], off
	global_wb scope:SCOPE_SYS
	s_wait_storecnt 0x0
	s_wait_xcnt 0x0
	global_atomic_cmpswap_b64 v[2:3], v8, v[2:5], s[4:5] offset:24 th:TH_ATOMIC_RETURN scope:SCOPE_SYS
	s_wait_loadcnt 0x0
	v_cmp_eq_u64_e32 vcc_lo, v[2:3], v[4:5]
	v_mov_b64_e32 v[4:5], v[2:3]
	s_or_b32 s2, vcc_lo, s2
	s_delay_alu instid0(SALU_CYCLE_1)
	s_and_not1_b32 exec_lo, exec_lo, s2
	s_cbranch_execnz .LBB0_210
.LBB0_211:
	s_or_b32 exec_lo, exec_lo, s10
	v_readfirstlane_b32 s0, v38
	v_mov_b64_e32 v[8:9], 0
	s_delay_alu instid0(VALU_DEP_2)
	v_cmp_eq_u32_e64 s0, s0, v38
	s_and_saveexec_b32 s1, s0
	s_cbranch_execz .LBB0_217
; %bb.212:
	v_mov_b32_e32 v2, 0
	s_mov_b32 s2, exec_lo
	global_load_b64 v[6:7], v2, s[4:5] offset:24 scope:SCOPE_SYS
	s_wait_loadcnt 0x0
	global_inv scope:SCOPE_SYS
	s_clause 0x1
	global_load_b64 v[4:5], v2, s[4:5] offset:40
	global_load_b64 v[8:9], v2, s[4:5]
	s_wait_loadcnt 0x1
	v_and_b32_e32 v4, v4, v6
	v_and_b32_e32 v5, v5, v7
	s_delay_alu instid0(VALU_DEP_1) | instskip(SKIP_1) | instid1(VALU_DEP_1)
	v_mul_u64_e32 v[4:5], 24, v[4:5]
	s_wait_loadcnt 0x0
	v_add_nc_u64_e32 v[4:5], v[8:9], v[4:5]
	global_load_b64 v[4:5], v[4:5], off scope:SCOPE_SYS
	s_wait_xcnt 0x0
	s_wait_loadcnt 0x0
	global_atomic_cmpswap_b64 v[8:9], v2, v[4:7], s[4:5] offset:24 th:TH_ATOMIC_RETURN scope:SCOPE_SYS
	s_wait_loadcnt 0x0
	global_inv scope:SCOPE_SYS
	s_wait_xcnt 0x0
	v_cmpx_ne_u64_e64 v[8:9], v[6:7]
	s_cbranch_execz .LBB0_216
; %bb.213:
	s_mov_b32 s3, 0
.LBB0_214:                              ; =>This Inner Loop Header: Depth=1
	s_sleep 1
	s_clause 0x1
	global_load_b64 v[4:5], v2, s[4:5] offset:40
	global_load_b64 v[10:11], v2, s[4:5]
	v_mov_b64_e32 v[6:7], v[8:9]
	s_wait_loadcnt 0x1
	s_delay_alu instid0(VALU_DEP_1) | instskip(SKIP_1) | instid1(VALU_DEP_1)
	v_and_b32_e32 v3, v4, v6
	s_wait_loadcnt 0x0
	v_mad_nc_u64_u32 v[8:9], v3, 24, v[10:11]
	s_delay_alu instid0(VALU_DEP_3) | instskip(NEXT) | instid1(VALU_DEP_1)
	v_and_b32_e32 v3, v5, v7
	v_mad_u32 v9, v3, 24, v9
	global_load_b64 v[4:5], v[8:9], off scope:SCOPE_SYS
	s_wait_xcnt 0x0
	s_wait_loadcnt 0x0
	global_atomic_cmpswap_b64 v[8:9], v2, v[4:7], s[4:5] offset:24 th:TH_ATOMIC_RETURN scope:SCOPE_SYS
	s_wait_loadcnt 0x0
	global_inv scope:SCOPE_SYS
	v_cmp_eq_u64_e32 vcc_lo, v[8:9], v[6:7]
	s_or_b32 s3, vcc_lo, s3
	s_wait_xcnt 0x0
	s_and_not1_b32 exec_lo, exec_lo, s3
	s_cbranch_execnz .LBB0_214
; %bb.215:
	s_or_b32 exec_lo, exec_lo, s3
.LBB0_216:
	s_delay_alu instid0(SALU_CYCLE_1)
	s_or_b32 exec_lo, exec_lo, s2
.LBB0_217:
	s_delay_alu instid0(SALU_CYCLE_1)
	s_or_b32 exec_lo, exec_lo, s1
	v_readfirstlane_b32 s2, v8
	v_mov_b32_e32 v3, 0
	v_readfirstlane_b32 s3, v9
	s_mov_b32 s1, exec_lo
	s_clause 0x1
	global_load_b64 v[10:11], v3, s[4:5] offset:40
	global_load_b128 v[4:7], v3, s[4:5]
	s_wait_loadcnt 0x1
	v_and_b32_e32 v10, s2, v10
	v_and_b32_e32 v11, s3, v11
	s_delay_alu instid0(VALU_DEP_1) | instskip(SKIP_1) | instid1(VALU_DEP_1)
	v_mul_u64_e32 v[8:9], 24, v[10:11]
	s_wait_loadcnt 0x0
	v_add_nc_u64_e32 v[8:9], v[4:5], v[8:9]
	s_wait_xcnt 0x0
	s_and_saveexec_b32 s10, s0
	s_cbranch_execz .LBB0_219
; %bb.218:
	v_mov_b32_e32 v2, s1
	v_mov_b64_e32 v[14:15], 0x100000002
	s_delay_alu instid0(VALU_DEP_2)
	v_mov_b64_e32 v[12:13], v[2:3]
	global_store_b128 v[8:9], v[12:15], off offset:8
.LBB0_219:
	s_wait_xcnt 0x0
	s_or_b32 exec_lo, exec_lo, s10
	v_lshlrev_b64_e32 v[10:11], 12, v[10:11]
	s_mov_b32 s12, 0
	v_and_or_b32 v0, 0xffffff1d, v0, 34
	s_mov_b32 s13, s12
	s_mov_b32 s14, s12
	;; [unrolled: 1-line block ×3, first 2 shown]
	v_mov_b32_e32 v2, s20
	v_add_nc_u64_e32 v[6:7], v[6:7], v[10:11]
	v_mov_b64_e32 v[10:11], s[12:13]
	v_mov_b64_e32 v[12:13], s[14:15]
	s_delay_alu instid0(VALU_DEP_3) | instskip(NEXT) | instid1(VALU_DEP_4)
	v_readfirstlane_b32 s10, v6
	v_readfirstlane_b32 s11, v7
	s_clause 0x3
	global_store_b128 v34, v[0:3], s[10:11]
	global_store_b128 v34, v[10:13], s[10:11] offset:16
	global_store_b128 v34, v[10:13], s[10:11] offset:32
	;; [unrolled: 1-line block ×3, first 2 shown]
	s_wait_xcnt 0x0
	s_and_saveexec_b32 s1, s0
	s_cbranch_execz .LBB0_227
; %bb.220:
	v_dual_mov_b32 v6, 0 :: v_dual_mov_b32 v11, s3
	s_mov_b32 s10, exec_lo
	s_clause 0x1
	global_load_b64 v[12:13], v6, s[4:5] offset:32 scope:SCOPE_SYS
	global_load_b64 v[0:1], v6, s[4:5] offset:40
	s_wait_loadcnt 0x0
	v_dual_mov_b32 v10, s2 :: v_dual_bitop2_b32 v1, s3, v1 bitop3:0x40
	v_and_b32_e32 v0, s2, v0
	s_delay_alu instid0(VALU_DEP_1) | instskip(NEXT) | instid1(VALU_DEP_1)
	v_mul_u64_e32 v[0:1], 24, v[0:1]
	v_add_nc_u64_e32 v[4:5], v[4:5], v[0:1]
	global_store_b64 v[4:5], v[12:13], off
	global_wb scope:SCOPE_SYS
	s_wait_storecnt 0x0
	s_wait_xcnt 0x0
	global_atomic_cmpswap_b64 v[2:3], v6, v[10:13], s[4:5] offset:32 th:TH_ATOMIC_RETURN scope:SCOPE_SYS
	s_wait_loadcnt 0x0
	v_cmpx_ne_u64_e64 v[2:3], v[12:13]
	s_cbranch_execz .LBB0_223
; %bb.221:
	s_mov_b32 s11, 0
.LBB0_222:                              ; =>This Inner Loop Header: Depth=1
	v_dual_mov_b32 v0, s2 :: v_dual_mov_b32 v1, s3
	s_sleep 1
	global_store_b64 v[4:5], v[2:3], off
	global_wb scope:SCOPE_SYS
	s_wait_storecnt 0x0
	s_wait_xcnt 0x0
	global_atomic_cmpswap_b64 v[0:1], v6, v[0:3], s[4:5] offset:32 th:TH_ATOMIC_RETURN scope:SCOPE_SYS
	s_wait_loadcnt 0x0
	v_cmp_eq_u64_e32 vcc_lo, v[0:1], v[2:3]
	v_mov_b64_e32 v[2:3], v[0:1]
	s_or_b32 s11, vcc_lo, s11
	s_delay_alu instid0(SALU_CYCLE_1)
	s_and_not1_b32 exec_lo, exec_lo, s11
	s_cbranch_execnz .LBB0_222
.LBB0_223:
	s_or_b32 exec_lo, exec_lo, s10
	v_mov_b32_e32 v3, 0
	s_mov_b32 s11, exec_lo
	s_mov_b32 s10, exec_lo
	v_mbcnt_lo_u32_b32 v2, s11, 0
	global_load_b64 v[0:1], v3, s[4:5] offset:16
	s_wait_xcnt 0x0
	v_cmpx_eq_u32_e32 0, v2
	s_cbranch_execz .LBB0_225
; %bb.224:
	s_bcnt1_i32_b32 s11, s11
	s_delay_alu instid0(SALU_CYCLE_1)
	v_mov_b32_e32 v2, s11
	global_wb scope:SCOPE_SYS
	s_wait_loadcnt 0x0
	s_wait_storecnt 0x0
	global_atomic_add_u64 v[0:1], v[2:3], off offset:8 scope:SCOPE_SYS
.LBB0_225:
	s_wait_xcnt 0x0
	s_or_b32 exec_lo, exec_lo, s10
	s_wait_loadcnt 0x0
	global_load_b64 v[2:3], v[0:1], off offset:16
	s_wait_loadcnt 0x0
	v_cmp_eq_u64_e32 vcc_lo, 0, v[2:3]
	s_cbranch_vccnz .LBB0_227
; %bb.226:
	global_load_b32 v0, v[0:1], off offset:24
	s_wait_xcnt 0x0
	v_mov_b32_e32 v1, 0
	s_wait_loadcnt 0x0
	v_readfirstlane_b32 s10, v0
	global_wb scope:SCOPE_SYS
	s_wait_storecnt 0x0
	global_store_b64 v[2:3], v[0:1], off scope:SCOPE_SYS
	s_and_b32 m0, s10, 0xffffff
	s_sendmsg sendmsg(MSG_INTERRUPT)
.LBB0_227:
	s_wait_xcnt 0x0
	s_or_b32 exec_lo, exec_lo, s1
	s_branch .LBB0_231
.LBB0_228:                              ;   in Loop: Header=BB0_231 Depth=1
	s_wait_xcnt 0x0
	s_or_b32 exec_lo, exec_lo, s1
	s_delay_alu instid0(VALU_DEP_1)
	v_readfirstlane_b32 s1, v0
	s_cmp_eq_u32 s1, 0
	s_cbranch_scc1 .LBB0_230
; %bb.229:                              ;   in Loop: Header=BB0_231 Depth=1
	s_sleep 1
	s_cbranch_execnz .LBB0_231
	s_branch .LBB0_233
.LBB0_230:
	s_branch .LBB0_233
.LBB0_231:                              ; =>This Inner Loop Header: Depth=1
	v_mov_b32_e32 v0, 1
	s_and_saveexec_b32 s1, s0
	s_cbranch_execz .LBB0_228
; %bb.232:                              ;   in Loop: Header=BB0_231 Depth=1
	global_load_b32 v0, v[8:9], off offset:20 scope:SCOPE_SYS
	s_wait_loadcnt 0x0
	global_inv scope:SCOPE_SYS
	v_and_b32_e32 v0, 1, v0
	s_branch .LBB0_228
.LBB0_233:
	s_and_saveexec_b32 s10, s0
	s_cbranch_execz .LBB0_237
; %bb.234:
	v_mov_b32_e32 v6, 0
	s_clause 0x2
	global_load_b64 v[0:1], v6, s[4:5] offset:40
	global_load_b64 v[10:11], v6, s[4:5] offset:24 scope:SCOPE_SYS
	global_load_b64 v[2:3], v6, s[4:5]
	s_wait_loadcnt 0x2
	v_readfirstlane_b32 s12, v0
	v_readfirstlane_b32 s13, v1
	s_add_nc_u64 s[0:1], s[12:13], 1
	s_delay_alu instid0(SALU_CYCLE_1) | instskip(NEXT) | instid1(SALU_CYCLE_1)
	s_add_nc_u64 s[2:3], s[0:1], s[2:3]
	s_cmp_eq_u64 s[2:3], 0
	s_cselect_b32 s1, s1, s3
	s_cselect_b32 s0, s0, s2
	v_mov_b32_e32 v9, s1
	s_and_b64 s[2:3], s[0:1], s[12:13]
	v_mov_b32_e32 v8, s0
	s_mul_u64 s[2:3], s[2:3], 24
	s_wait_loadcnt 0x0
	v_add_nc_u64_e32 v[4:5], s[2:3], v[2:3]
	global_store_b64 v[4:5], v[10:11], off
	global_wb scope:SCOPE_SYS
	s_wait_storecnt 0x0
	s_wait_xcnt 0x0
	global_atomic_cmpswap_b64 v[2:3], v6, v[8:11], s[4:5] offset:24 th:TH_ATOMIC_RETURN scope:SCOPE_SYS
	s_wait_loadcnt 0x0
	v_cmp_ne_u64_e32 vcc_lo, v[2:3], v[10:11]
	s_and_b32 exec_lo, exec_lo, vcc_lo
	s_cbranch_execz .LBB0_237
; %bb.235:
	s_mov_b32 s2, 0
.LBB0_236:                              ; =>This Inner Loop Header: Depth=1
	v_dual_mov_b32 v0, s0 :: v_dual_mov_b32 v1, s1
	s_sleep 1
	global_store_b64 v[4:5], v[2:3], off
	global_wb scope:SCOPE_SYS
	s_wait_storecnt 0x0
	s_wait_xcnt 0x0
	global_atomic_cmpswap_b64 v[0:1], v6, v[0:3], s[4:5] offset:24 th:TH_ATOMIC_RETURN scope:SCOPE_SYS
	s_wait_loadcnt 0x0
	v_cmp_eq_u64_e32 vcc_lo, v[0:1], v[2:3]
	v_mov_b64_e32 v[2:3], v[0:1]
	s_or_b32 s2, vcc_lo, s2
	s_delay_alu instid0(SALU_CYCLE_1)
	s_and_not1_b32 exec_lo, exec_lo, s2
	s_cbranch_execnz .LBB0_236
.LBB0_237:
	s_or_b32 exec_lo, exec_lo, s10
	v_mov_b32_e32 v0, 0
	s_mov_b32 s0, exec_lo
	flat_load_b32 v1, v0, s[6:7] scope:SCOPE_SYS
	s_wait_loadcnt 0x0
	global_load_b32 v2, v0, s[8:9]
	s_wait_dscnt 0x0
	s_wait_xcnt 0x0
	v_cmpx_ne_u32_e64 s19, v1
	s_cbranch_execz .LBB0_241
; %bb.238:
	s_mov_b32 s1, 0
.LBB0_239:                              ; =>This Inner Loop Header: Depth=1
	s_wait_loadcnt 0x0
	v_add_nc_u32_e32 v2, 1, v2
	s_wait_kmcnt 0x0
	global_store_b32 v0, v2, s[8:9]
	flat_load_b32 v1, v0, s[6:7] scope:SCOPE_SYS
	s_wait_loadcnt_dscnt 0x0
	v_cmp_eq_u32_e32 vcc_lo, s19, v1
	s_or_b32 s1, vcc_lo, s1
	s_wait_xcnt 0x0
	s_and_not1_b32 exec_lo, exec_lo, s1
	s_cbranch_execnz .LBB0_239
; %bb.240:
	s_or_b32 exec_lo, exec_lo, s1
.LBB0_241:
	s_delay_alu instid0(SALU_CYCLE_1)
	s_or_b32 exec_lo, exec_lo, s0
	v_mov_b32_e32 v3, 0
	v_readfirstlane_b32 s0, v38
	v_mov_b64_e32 v[0:1], 0
	flat_load_b32 v6, v3, s[6:7] scope:SCOPE_SYS
	s_wait_loadcnt 0x0
	v_cmp_eq_u32_e64 s0, s0, v38
	s_wait_xcnt 0x0
	s_and_saveexec_b32 s1, s0
	s_cbranch_execz .LBB0_247
; %bb.242:
	global_load_b64 v[10:11], v3, s[4:5] offset:24 scope:SCOPE_SYS
	s_wait_loadcnt 0x0
	global_inv scope:SCOPE_SYS
	s_clause 0x1
	global_load_b64 v[0:1], v3, s[4:5] offset:40
	global_load_b64 v[4:5], v3, s[4:5]
	s_mov_b32 s2, exec_lo
	s_wait_loadcnt 0x1
	v_and_b32_e32 v0, v0, v10
	v_and_b32_e32 v1, v1, v11
	s_delay_alu instid0(VALU_DEP_1) | instskip(SKIP_1) | instid1(VALU_DEP_1)
	v_mul_u64_e32 v[0:1], 24, v[0:1]
	s_wait_loadcnt 0x0
	v_add_nc_u64_e32 v[0:1], v[4:5], v[0:1]
	global_load_b64 v[8:9], v[0:1], off scope:SCOPE_SYS
	s_wait_xcnt 0x0
	s_wait_loadcnt 0x0
	global_atomic_cmpswap_b64 v[0:1], v3, v[8:11], s[4:5] offset:24 th:TH_ATOMIC_RETURN scope:SCOPE_SYS
	s_wait_loadcnt 0x0
	global_inv scope:SCOPE_SYS
	s_wait_xcnt 0x0
	v_cmpx_ne_u64_e64 v[0:1], v[10:11]
	s_cbranch_execz .LBB0_246
; %bb.243:
	v_mov_b32_e32 v4, 0
	s_mov_b32 s3, 0
.LBB0_244:                              ; =>This Inner Loop Header: Depth=1
	s_sleep 1
	s_clause 0x1
	global_load_b64 v[8:9], v4, s[4:5] offset:40
	global_load_b64 v[12:13], v4, s[4:5]
	v_mov_b64_e32 v[10:11], v[0:1]
	s_wait_loadcnt 0x1
	s_delay_alu instid0(VALU_DEP_1) | instskip(NEXT) | instid1(VALU_DEP_2)
	v_and_b32_e32 v0, v8, v10
	v_and_b32_e32 v5, v9, v11
	s_wait_loadcnt 0x0
	s_delay_alu instid0(VALU_DEP_2) | instskip(NEXT) | instid1(VALU_DEP_1)
	v_mad_nc_u64_u32 v[0:1], v0, 24, v[12:13]
	v_mad_u32 v1, v5, 24, v1
	global_load_b64 v[8:9], v[0:1], off scope:SCOPE_SYS
	s_wait_xcnt 0x0
	s_wait_loadcnt 0x0
	global_atomic_cmpswap_b64 v[0:1], v4, v[8:11], s[4:5] offset:24 th:TH_ATOMIC_RETURN scope:SCOPE_SYS
	s_wait_loadcnt 0x0
	global_inv scope:SCOPE_SYS
	v_cmp_eq_u64_e32 vcc_lo, v[0:1], v[10:11]
	s_or_b32 s3, vcc_lo, s3
	s_wait_xcnt 0x0
	s_and_not1_b32 exec_lo, exec_lo, s3
	s_cbranch_execnz .LBB0_244
; %bb.245:
	s_or_b32 exec_lo, exec_lo, s3
.LBB0_246:
	s_delay_alu instid0(SALU_CYCLE_1)
	s_or_b32 exec_lo, exec_lo, s2
.LBB0_247:
	s_delay_alu instid0(SALU_CYCLE_1)
	s_or_b32 exec_lo, exec_lo, s1
	s_clause 0x1
	global_load_b64 v[4:5], v3, s[4:5] offset:40
	global_load_b128 v[8:11], v3, s[4:5]
	v_readfirstlane_b32 s2, v0
	v_readfirstlane_b32 s3, v1
	s_mov_b32 s1, exec_lo
	s_wait_loadcnt 0x1
	v_and_b32_e32 v4, s2, v4
	v_and_b32_e32 v5, s3, v5
	s_delay_alu instid0(VALU_DEP_1) | instskip(SKIP_1) | instid1(VALU_DEP_1)
	v_mul_u64_e32 v[0:1], 24, v[4:5]
	s_wait_loadcnt 0x0
	v_add_nc_u64_e32 v[0:1], v[8:9], v[0:1]
	s_wait_xcnt 0x0
	s_and_saveexec_b32 s10, s0
	s_cbranch_execz .LBB0_249
; %bb.248:
	v_mov_b64_e32 v[14:15], 0x100000002
	v_dual_mov_b32 v12, s1 :: v_dual_mov_b32 v13, 0
	global_store_b128 v[0:1], v[12:15], off offset:8
.LBB0_249:
	s_wait_xcnt 0x0
	s_or_b32 exec_lo, exec_lo, s10
	v_lshlrev_b64_e32 v[4:5], 12, v[4:5]
	s_mov_b32 s12, 0
	v_dual_mov_b32 v35, 0 :: v_dual_mov_b32 v12, 33
	s_mov_b32 s14, s12
	s_mov_b32 s15, s12
	;; [unrolled: 1-line block ×3, first 2 shown]
	s_delay_alu instid0(VALU_DEP_2)
	v_add_nc_u64_e32 v[4:5], v[10:11], v[4:5]
	v_mov_b64_e32 v[18:19], s[14:15]
	v_mov_b64_e32 v[16:17], s[12:13]
	v_dual_mov_b32 v13, v35 :: v_dual_mov_b32 v14, v35
	v_mov_b32_e32 v15, v35
	v_readfirstlane_b32 s10, v4
	v_readfirstlane_b32 s11, v5
	s_clause 0x3
	global_store_b128 v34, v[12:15], s[10:11]
	global_store_b128 v34, v[16:19], s[10:11] offset:16
	global_store_b128 v34, v[16:19], s[10:11] offset:32
	;; [unrolled: 1-line block ×3, first 2 shown]
	s_wait_xcnt 0x0
	s_and_saveexec_b32 s1, s0
	s_cbranch_execz .LBB0_257
; %bb.250:
	s_clause 0x1
	global_load_b64 v[16:17], v35, s[4:5] offset:32 scope:SCOPE_SYS
	global_load_b64 v[10:11], v35, s[4:5] offset:40
	s_mov_b32 s10, exec_lo
	v_dual_mov_b32 v14, s2 :: v_dual_mov_b32 v15, s3
	s_wait_loadcnt 0x0
	v_and_b32_e32 v11, s3, v11
	v_and_b32_e32 v10, s2, v10
	s_delay_alu instid0(VALU_DEP_1) | instskip(NEXT) | instid1(VALU_DEP_1)
	v_mul_u64_e32 v[10:11], 24, v[10:11]
	v_add_nc_u64_e32 v[12:13], v[8:9], v[10:11]
	global_store_b64 v[12:13], v[16:17], off
	global_wb scope:SCOPE_SYS
	s_wait_storecnt 0x0
	s_wait_xcnt 0x0
	global_atomic_cmpswap_b64 v[10:11], v35, v[14:17], s[4:5] offset:32 th:TH_ATOMIC_RETURN scope:SCOPE_SYS
	s_wait_loadcnt 0x0
	v_cmpx_ne_u64_e64 v[10:11], v[16:17]
	s_cbranch_execz .LBB0_253
; %bb.251:
	v_mov_b32_e32 v3, 0
	s_mov_b32 s11, 0
.LBB0_252:                              ; =>This Inner Loop Header: Depth=1
	v_dual_mov_b32 v8, s2 :: v_dual_mov_b32 v9, s3
	s_sleep 1
	global_store_b64 v[12:13], v[10:11], off
	global_wb scope:SCOPE_SYS
	s_wait_storecnt 0x0
	s_wait_xcnt 0x0
	global_atomic_cmpswap_b64 v[8:9], v3, v[8:11], s[4:5] offset:32 th:TH_ATOMIC_RETURN scope:SCOPE_SYS
	s_wait_loadcnt 0x0
	v_cmp_eq_u64_e32 vcc_lo, v[8:9], v[10:11]
	v_mov_b64_e32 v[10:11], v[8:9]
	s_or_b32 s11, vcc_lo, s11
	s_delay_alu instid0(SALU_CYCLE_1)
	s_and_not1_b32 exec_lo, exec_lo, s11
	s_cbranch_execnz .LBB0_252
.LBB0_253:
	s_or_b32 exec_lo, exec_lo, s10
	v_mov_b32_e32 v11, 0
	s_mov_b32 s11, exec_lo
	s_mov_b32 s10, exec_lo
	v_mbcnt_lo_u32_b32 v3, s11, 0
	global_load_b64 v[8:9], v11, s[4:5] offset:16
	s_wait_xcnt 0x0
	v_cmpx_eq_u32_e32 0, v3
	s_cbranch_execz .LBB0_255
; %bb.254:
	s_bcnt1_i32_b32 s11, s11
	s_delay_alu instid0(SALU_CYCLE_1)
	v_mov_b32_e32 v10, s11
	global_wb scope:SCOPE_SYS
	s_wait_loadcnt 0x0
	s_wait_storecnt 0x0
	global_atomic_add_u64 v[8:9], v[10:11], off offset:8 scope:SCOPE_SYS
.LBB0_255:
	s_wait_xcnt 0x0
	s_or_b32 exec_lo, exec_lo, s10
	s_wait_loadcnt 0x0
	global_load_b64 v[10:11], v[8:9], off offset:16
	s_wait_loadcnt 0x0
	v_cmp_eq_u64_e32 vcc_lo, 0, v[10:11]
	s_cbranch_vccnz .LBB0_257
; %bb.256:
	global_load_b32 v8, v[8:9], off offset:24
	s_wait_xcnt 0x0
	v_mov_b32_e32 v9, 0
	s_wait_loadcnt 0x0
	v_readfirstlane_b32 s10, v8
	global_wb scope:SCOPE_SYS
	s_wait_storecnt 0x0
	global_store_b64 v[10:11], v[8:9], off scope:SCOPE_SYS
	s_and_b32 m0, s10, 0xffffff
	s_sendmsg sendmsg(MSG_INTERRUPT)
.LBB0_257:
	s_wait_xcnt 0x0
	s_or_b32 exec_lo, exec_lo, s1
	v_add_nc_u64_e32 v[4:5], v[4:5], v[34:35]
	s_branch .LBB0_261
.LBB0_258:                              ;   in Loop: Header=BB0_261 Depth=1
	s_wait_xcnt 0x0
	s_or_b32 exec_lo, exec_lo, s1
	s_delay_alu instid0(VALU_DEP_1)
	v_readfirstlane_b32 s1, v3
	s_cmp_eq_u32 s1, 0
	s_cbranch_scc1 .LBB0_260
; %bb.259:                              ;   in Loop: Header=BB0_261 Depth=1
	s_sleep 1
	s_cbranch_execnz .LBB0_261
	s_branch .LBB0_263
.LBB0_260:
	s_branch .LBB0_263
.LBB0_261:                              ; =>This Inner Loop Header: Depth=1
	v_mov_b32_e32 v3, 1
	s_and_saveexec_b32 s1, s0
	s_cbranch_execz .LBB0_258
; %bb.262:                              ;   in Loop: Header=BB0_261 Depth=1
	global_load_b32 v3, v[0:1], off offset:20 scope:SCOPE_SYS
	s_wait_loadcnt 0x0
	global_inv scope:SCOPE_SYS
	v_and_b32_e32 v3, 1, v3
	s_branch .LBB0_258
.LBB0_263:
	global_load_b64 v[8:9], v[4:5], off
	s_wait_xcnt 0x0
	s_and_saveexec_b32 s10, s0
	s_cbranch_execz .LBB0_267
; %bb.264:
	v_mov_b32_e32 v3, 0
	s_clause 0x2
	global_load_b64 v[0:1], v3, s[4:5] offset:40
	global_load_b64 v[14:15], v3, s[4:5] offset:24 scope:SCOPE_SYS
	global_load_b64 v[4:5], v3, s[4:5]
	s_wait_loadcnt 0x2
	v_readfirstlane_b32 s12, v0
	v_readfirstlane_b32 s13, v1
	s_add_nc_u64 s[0:1], s[12:13], 1
	s_delay_alu instid0(SALU_CYCLE_1) | instskip(NEXT) | instid1(SALU_CYCLE_1)
	s_add_nc_u64 s[2:3], s[0:1], s[2:3]
	s_cmp_eq_u64 s[2:3], 0
	s_cselect_b32 s1, s1, s3
	s_cselect_b32 s0, s0, s2
	v_mov_b32_e32 v13, s1
	s_and_b64 s[2:3], s[0:1], s[12:13]
	v_mov_b32_e32 v12, s0
	s_mul_u64 s[2:3], s[2:3], 24
	s_wait_loadcnt 0x0
	v_add_nc_u64_e32 v[0:1], s[2:3], v[4:5]
	global_store_b64 v[0:1], v[14:15], off
	global_wb scope:SCOPE_SYS
	s_wait_storecnt 0x0
	s_wait_xcnt 0x0
	global_atomic_cmpswap_b64 v[12:13], v3, v[12:15], s[4:5] offset:24 th:TH_ATOMIC_RETURN scope:SCOPE_SYS
	s_wait_loadcnt 0x0
	v_cmp_ne_u64_e32 vcc_lo, v[12:13], v[14:15]
	s_and_b32 exec_lo, exec_lo, vcc_lo
	s_cbranch_execz .LBB0_267
; %bb.265:
	s_mov_b32 s2, 0
.LBB0_266:                              ; =>This Inner Loop Header: Depth=1
	v_dual_mov_b32 v10, s0 :: v_dual_mov_b32 v11, s1
	s_sleep 1
	global_store_b64 v[0:1], v[12:13], off
	global_wb scope:SCOPE_SYS
	s_wait_storecnt 0x0
	s_wait_xcnt 0x0
	global_atomic_cmpswap_b64 v[4:5], v3, v[10:13], s[4:5] offset:24 th:TH_ATOMIC_RETURN scope:SCOPE_SYS
	s_wait_loadcnt 0x0
	v_cmp_eq_u64_e32 vcc_lo, v[4:5], v[12:13]
	v_mov_b64_e32 v[12:13], v[4:5]
	s_or_b32 s2, vcc_lo, s2
	s_delay_alu instid0(SALU_CYCLE_1)
	s_and_not1_b32 exec_lo, exec_lo, s2
	s_cbranch_execnz .LBB0_266
.LBB0_267:
	s_or_b32 exec_lo, exec_lo, s10
	s_get_pc_i64 s[2:3]
	s_add_nc_u64 s[2:3], s[2:3], .str.1@rel64+4
	s_delay_alu instid0(SALU_CYCLE_1)
	s_cmp_lg_u64 s[2:3], 0
	s_cbranch_scc0 .LBB0_346
; %bb.268:
	v_mov_b64_e32 v[16:17], 0x100000002
	s_wait_loadcnt 0x0
	v_dual_mov_b32 v15, 0 :: v_dual_bitop2_b32 v0, 2, v8 bitop3:0x40
	v_dual_mov_b32 v11, v9 :: v_dual_bitop2_b32 v10, -3, v8 bitop3:0x40
	s_mov_b64 s[10:11], 41
	s_branch .LBB0_270
.LBB0_269:                              ;   in Loop: Header=BB0_270 Depth=1
	s_or_b32 exec_lo, exec_lo, s16
	s_sub_nc_u64 s[10:11], s[10:11], s[12:13]
	s_add_nc_u64 s[2:3], s[2:3], s[12:13]
	s_cmp_lg_u64 s[10:11], 0
	s_cbranch_scc0 .LBB0_345
.LBB0_270:                              ; =>This Loop Header: Depth=1
                                        ;     Child Loop BB0_273 Depth 2
                                        ;     Child Loop BB0_280 Depth 2
                                        ;     Child Loop BB0_287 Depth 2
                                        ;     Child Loop BB0_294 Depth 2
                                        ;     Child Loop BB0_301 Depth 2
                                        ;     Child Loop BB0_308 Depth 2
                                        ;     Child Loop BB0_315 Depth 2
                                        ;     Child Loop BB0_322 Depth 2
                                        ;     Child Loop BB0_330 Depth 2
                                        ;     Child Loop BB0_339 Depth 2
                                        ;     Child Loop BB0_344 Depth 2
	v_min_u64 v[4:5], s[10:11], 56
	v_cmp_gt_u64_e64 s0, s[10:11], 7
	s_and_b32 vcc_lo, exec_lo, s0
	v_readfirstlane_b32 s12, v4
	v_readfirstlane_b32 s13, v5
	s_cbranch_vccnz .LBB0_275
; %bb.271:                              ;   in Loop: Header=BB0_270 Depth=1
	v_mov_b64_e32 v[12:13], 0
	s_cmp_eq_u64 s[10:11], 0
	s_cbranch_scc1 .LBB0_274
; %bb.272:                              ;   in Loop: Header=BB0_270 Depth=1
	s_mov_b64 s[0:1], 0
	s_mov_b64 s[14:15], 0
.LBB0_273:                              ;   Parent Loop BB0_270 Depth=1
                                        ; =>  This Inner Loop Header: Depth=2
	s_wait_xcnt 0x0
	s_add_nc_u64 s[16:17], s[2:3], s[14:15]
	s_add_nc_u64 s[14:15], s[14:15], 1
	global_load_u8 v1, v15, s[16:17]
	s_cmp_lg_u32 s12, s14
	s_wait_loadcnt 0x0
	v_and_b32_e32 v14, 0xffff, v1
	s_delay_alu instid0(VALU_DEP_1) | instskip(SKIP_1) | instid1(VALU_DEP_1)
	v_lshlrev_b64_e32 v[4:5], s0, v[14:15]
	s_add_nc_u64 s[0:1], s[0:1], 8
	v_or_b32_e32 v12, v4, v12
	s_delay_alu instid0(VALU_DEP_2)
	v_or_b32_e32 v13, v5, v13
	s_cbranch_scc1 .LBB0_273
.LBB0_274:                              ;   in Loop: Header=BB0_270 Depth=1
	s_mov_b64 s[14:15], s[2:3]
	s_mov_b32 s20, 0
	s_cbranch_execz .LBB0_276
	s_branch .LBB0_277
.LBB0_275:                              ;   in Loop: Header=BB0_270 Depth=1
	s_add_nc_u64 s[14:15], s[2:3], 8
	s_mov_b32 s20, 0
.LBB0_276:                              ;   in Loop: Header=BB0_270 Depth=1
	global_load_b64 v[12:13], v15, s[2:3]
	s_add_co_i32 s20, s12, -8
.LBB0_277:                              ;   in Loop: Header=BB0_270 Depth=1
	s_delay_alu instid0(SALU_CYCLE_1)
	s_cmp_gt_u32 s20, 7
	s_cbranch_scc1 .LBB0_282
; %bb.278:                              ;   in Loop: Header=BB0_270 Depth=1
	v_mov_b64_e32 v[18:19], 0
	s_cmp_eq_u32 s20, 0
	s_cbranch_scc1 .LBB0_281
; %bb.279:                              ;   in Loop: Header=BB0_270 Depth=1
	s_mov_b64 s[0:1], 0
	s_wait_xcnt 0x0
	s_mov_b64 s[16:17], 0
.LBB0_280:                              ;   Parent Loop BB0_270 Depth=1
                                        ; =>  This Inner Loop Header: Depth=2
	s_wait_xcnt 0x0
	s_add_nc_u64 s[22:23], s[14:15], s[16:17]
	s_add_nc_u64 s[16:17], s[16:17], 1
	global_load_u8 v1, v15, s[22:23]
	s_cmp_lg_u32 s20, s16
	s_wait_loadcnt 0x0
	v_and_b32_e32 v14, 0xffff, v1
	s_delay_alu instid0(VALU_DEP_1) | instskip(SKIP_1) | instid1(VALU_DEP_1)
	v_lshlrev_b64_e32 v[4:5], s0, v[14:15]
	s_add_nc_u64 s[0:1], s[0:1], 8
	v_or_b32_e32 v18, v4, v18
	s_delay_alu instid0(VALU_DEP_2)
	v_or_b32_e32 v19, v5, v19
	s_cbranch_scc1 .LBB0_280
.LBB0_281:                              ;   in Loop: Header=BB0_270 Depth=1
	s_wait_xcnt 0x0
	s_mov_b64 s[0:1], s[14:15]
	s_mov_b32 s21, 0
	s_cbranch_execz .LBB0_283
	s_branch .LBB0_284
.LBB0_282:                              ;   in Loop: Header=BB0_270 Depth=1
	s_add_nc_u64 s[0:1], s[14:15], 8
	s_wait_xcnt 0x0
                                        ; implicit-def: $vgpr18_vgpr19
	s_mov_b32 s21, 0
.LBB0_283:                              ;   in Loop: Header=BB0_270 Depth=1
	global_load_b64 v[18:19], v15, s[14:15]
	s_add_co_i32 s21, s20, -8
.LBB0_284:                              ;   in Loop: Header=BB0_270 Depth=1
	s_delay_alu instid0(SALU_CYCLE_1)
	s_cmp_gt_u32 s21, 7
	s_cbranch_scc1 .LBB0_289
; %bb.285:                              ;   in Loop: Header=BB0_270 Depth=1
	v_mov_b64_e32 v[20:21], 0
	s_cmp_eq_u32 s21, 0
	s_cbranch_scc1 .LBB0_288
; %bb.286:                              ;   in Loop: Header=BB0_270 Depth=1
	s_wait_xcnt 0x0
	s_mov_b64 s[14:15], 0
	s_mov_b64 s[16:17], 0
.LBB0_287:                              ;   Parent Loop BB0_270 Depth=1
                                        ; =>  This Inner Loop Header: Depth=2
	s_wait_xcnt 0x0
	s_add_nc_u64 s[22:23], s[0:1], s[16:17]
	s_add_nc_u64 s[16:17], s[16:17], 1
	global_load_u8 v1, v15, s[22:23]
	s_cmp_lg_u32 s21, s16
	s_wait_loadcnt 0x0
	v_and_b32_e32 v14, 0xffff, v1
	s_delay_alu instid0(VALU_DEP_1) | instskip(SKIP_1) | instid1(VALU_DEP_1)
	v_lshlrev_b64_e32 v[4:5], s14, v[14:15]
	s_add_nc_u64 s[14:15], s[14:15], 8
	v_or_b32_e32 v20, v4, v20
	s_delay_alu instid0(VALU_DEP_2)
	v_or_b32_e32 v21, v5, v21
	s_cbranch_scc1 .LBB0_287
.LBB0_288:                              ;   in Loop: Header=BB0_270 Depth=1
	s_wait_xcnt 0x0
	s_mov_b64 s[14:15], s[0:1]
	s_mov_b32 s20, 0
	s_cbranch_execz .LBB0_290
	s_branch .LBB0_291
.LBB0_289:                              ;   in Loop: Header=BB0_270 Depth=1
	s_wait_xcnt 0x0
	s_add_nc_u64 s[14:15], s[0:1], 8
	s_mov_b32 s20, 0
.LBB0_290:                              ;   in Loop: Header=BB0_270 Depth=1
	global_load_b64 v[20:21], v15, s[0:1]
	s_add_co_i32 s20, s21, -8
.LBB0_291:                              ;   in Loop: Header=BB0_270 Depth=1
	s_delay_alu instid0(SALU_CYCLE_1)
	s_cmp_gt_u32 s20, 7
	s_cbranch_scc1 .LBB0_296
; %bb.292:                              ;   in Loop: Header=BB0_270 Depth=1
	v_mov_b64_e32 v[22:23], 0
	s_cmp_eq_u32 s20, 0
	s_cbranch_scc1 .LBB0_295
; %bb.293:                              ;   in Loop: Header=BB0_270 Depth=1
	s_wait_xcnt 0x0
	s_mov_b64 s[0:1], 0
	s_mov_b64 s[16:17], 0
.LBB0_294:                              ;   Parent Loop BB0_270 Depth=1
                                        ; =>  This Inner Loop Header: Depth=2
	s_wait_xcnt 0x0
	s_add_nc_u64 s[22:23], s[14:15], s[16:17]
	s_add_nc_u64 s[16:17], s[16:17], 1
	global_load_u8 v1, v15, s[22:23]
	s_cmp_lg_u32 s20, s16
	s_wait_loadcnt 0x0
	v_and_b32_e32 v14, 0xffff, v1
	s_delay_alu instid0(VALU_DEP_1) | instskip(SKIP_1) | instid1(VALU_DEP_1)
	v_lshlrev_b64_e32 v[4:5], s0, v[14:15]
	s_add_nc_u64 s[0:1], s[0:1], 8
	v_or_b32_e32 v22, v4, v22
	s_delay_alu instid0(VALU_DEP_2)
	v_or_b32_e32 v23, v5, v23
	s_cbranch_scc1 .LBB0_294
.LBB0_295:                              ;   in Loop: Header=BB0_270 Depth=1
	s_wait_xcnt 0x0
	s_mov_b64 s[0:1], s[14:15]
	s_mov_b32 s21, 0
	s_cbranch_execz .LBB0_297
	s_branch .LBB0_298
.LBB0_296:                              ;   in Loop: Header=BB0_270 Depth=1
	s_wait_xcnt 0x0
	s_add_nc_u64 s[0:1], s[14:15], 8
                                        ; implicit-def: $vgpr22_vgpr23
	s_mov_b32 s21, 0
.LBB0_297:                              ;   in Loop: Header=BB0_270 Depth=1
	global_load_b64 v[22:23], v15, s[14:15]
	s_add_co_i32 s21, s20, -8
.LBB0_298:                              ;   in Loop: Header=BB0_270 Depth=1
	s_delay_alu instid0(SALU_CYCLE_1)
	s_cmp_gt_u32 s21, 7
	s_cbranch_scc1 .LBB0_303
; %bb.299:                              ;   in Loop: Header=BB0_270 Depth=1
	v_mov_b64_e32 v[24:25], 0
	s_cmp_eq_u32 s21, 0
	s_cbranch_scc1 .LBB0_302
; %bb.300:                              ;   in Loop: Header=BB0_270 Depth=1
	s_wait_xcnt 0x0
	s_mov_b64 s[14:15], 0
	s_mov_b64 s[16:17], 0
.LBB0_301:                              ;   Parent Loop BB0_270 Depth=1
                                        ; =>  This Inner Loop Header: Depth=2
	s_wait_xcnt 0x0
	s_add_nc_u64 s[22:23], s[0:1], s[16:17]
	s_add_nc_u64 s[16:17], s[16:17], 1
	global_load_u8 v1, v15, s[22:23]
	s_cmp_lg_u32 s21, s16
	s_wait_loadcnt 0x0
	v_and_b32_e32 v14, 0xffff, v1
	s_delay_alu instid0(VALU_DEP_1) | instskip(SKIP_1) | instid1(VALU_DEP_1)
	v_lshlrev_b64_e32 v[4:5], s14, v[14:15]
	s_add_nc_u64 s[14:15], s[14:15], 8
	v_or_b32_e32 v24, v4, v24
	s_delay_alu instid0(VALU_DEP_2)
	v_or_b32_e32 v25, v5, v25
	s_cbranch_scc1 .LBB0_301
.LBB0_302:                              ;   in Loop: Header=BB0_270 Depth=1
	s_wait_xcnt 0x0
	s_mov_b64 s[14:15], s[0:1]
	s_mov_b32 s20, 0
	s_cbranch_execz .LBB0_304
	s_branch .LBB0_305
.LBB0_303:                              ;   in Loop: Header=BB0_270 Depth=1
	s_wait_xcnt 0x0
	s_add_nc_u64 s[14:15], s[0:1], 8
	s_mov_b32 s20, 0
.LBB0_304:                              ;   in Loop: Header=BB0_270 Depth=1
	global_load_b64 v[24:25], v15, s[0:1]
	s_add_co_i32 s20, s21, -8
.LBB0_305:                              ;   in Loop: Header=BB0_270 Depth=1
	s_delay_alu instid0(SALU_CYCLE_1)
	s_cmp_gt_u32 s20, 7
	s_cbranch_scc1 .LBB0_310
; %bb.306:                              ;   in Loop: Header=BB0_270 Depth=1
	v_mov_b64_e32 v[26:27], 0
	s_cmp_eq_u32 s20, 0
	s_cbranch_scc1 .LBB0_309
; %bb.307:                              ;   in Loop: Header=BB0_270 Depth=1
	s_wait_xcnt 0x0
	s_mov_b64 s[0:1], 0
	s_mov_b64 s[16:17], 0
.LBB0_308:                              ;   Parent Loop BB0_270 Depth=1
                                        ; =>  This Inner Loop Header: Depth=2
	s_wait_xcnt 0x0
	s_add_nc_u64 s[22:23], s[14:15], s[16:17]
	s_add_nc_u64 s[16:17], s[16:17], 1
	global_load_u8 v1, v15, s[22:23]
	s_cmp_lg_u32 s20, s16
	s_wait_loadcnt 0x0
	v_and_b32_e32 v14, 0xffff, v1
	s_delay_alu instid0(VALU_DEP_1) | instskip(SKIP_1) | instid1(VALU_DEP_1)
	v_lshlrev_b64_e32 v[4:5], s0, v[14:15]
	s_add_nc_u64 s[0:1], s[0:1], 8
	v_or_b32_e32 v26, v4, v26
	s_delay_alu instid0(VALU_DEP_2)
	v_or_b32_e32 v27, v5, v27
	s_cbranch_scc1 .LBB0_308
.LBB0_309:                              ;   in Loop: Header=BB0_270 Depth=1
	s_wait_xcnt 0x0
	s_mov_b64 s[0:1], s[14:15]
	s_mov_b32 s21, 0
	s_cbranch_execz .LBB0_311
	s_branch .LBB0_312
.LBB0_310:                              ;   in Loop: Header=BB0_270 Depth=1
	s_wait_xcnt 0x0
	s_add_nc_u64 s[0:1], s[14:15], 8
                                        ; implicit-def: $vgpr26_vgpr27
	s_mov_b32 s21, 0
.LBB0_311:                              ;   in Loop: Header=BB0_270 Depth=1
	global_load_b64 v[26:27], v15, s[14:15]
	s_add_co_i32 s21, s20, -8
.LBB0_312:                              ;   in Loop: Header=BB0_270 Depth=1
	s_delay_alu instid0(SALU_CYCLE_1)
	s_cmp_gt_u32 s21, 7
	s_cbranch_scc1 .LBB0_317
; %bb.313:                              ;   in Loop: Header=BB0_270 Depth=1
	v_mov_b64_e32 v[28:29], 0
	s_cmp_eq_u32 s21, 0
	s_cbranch_scc1 .LBB0_316
; %bb.314:                              ;   in Loop: Header=BB0_270 Depth=1
	s_wait_xcnt 0x0
	s_mov_b64 s[14:15], 0
	s_mov_b64 s[16:17], s[0:1]
.LBB0_315:                              ;   Parent Loop BB0_270 Depth=1
                                        ; =>  This Inner Loop Header: Depth=2
	global_load_u8 v1, v15, s[16:17]
	s_add_co_i32 s21, s21, -1
	s_wait_xcnt 0x0
	s_add_nc_u64 s[16:17], s[16:17], 1
	s_cmp_lg_u32 s21, 0
	s_wait_loadcnt 0x0
	v_and_b32_e32 v14, 0xffff, v1
	s_delay_alu instid0(VALU_DEP_1) | instskip(SKIP_1) | instid1(VALU_DEP_1)
	v_lshlrev_b64_e32 v[4:5], s14, v[14:15]
	s_add_nc_u64 s[14:15], s[14:15], 8
	v_or_b32_e32 v28, v4, v28
	s_delay_alu instid0(VALU_DEP_2)
	v_or_b32_e32 v29, v5, v29
	s_cbranch_scc1 .LBB0_315
.LBB0_316:                              ;   in Loop: Header=BB0_270 Depth=1
	s_wait_xcnt 0x0
	s_cbranch_execz .LBB0_318
	s_branch .LBB0_319
.LBB0_317:                              ;   in Loop: Header=BB0_270 Depth=1
	s_wait_xcnt 0x0
.LBB0_318:                              ;   in Loop: Header=BB0_270 Depth=1
	global_load_b64 v[28:29], v15, s[0:1]
.LBB0_319:                              ;   in Loop: Header=BB0_270 Depth=1
	s_wait_xcnt 0x0
	v_readfirstlane_b32 s0, v38
	v_mov_b64_e32 v[4:5], 0
	s_delay_alu instid0(VALU_DEP_2)
	v_cmp_eq_u32_e64 s0, s0, v38
	s_and_saveexec_b32 s1, s0
	s_cbranch_execz .LBB0_325
; %bb.320:                              ;   in Loop: Header=BB0_270 Depth=1
	global_load_b64 v[32:33], v15, s[4:5] offset:24 scope:SCOPE_SYS
	s_wait_loadcnt 0x0
	global_inv scope:SCOPE_SYS
	s_clause 0x1
	global_load_b64 v[4:5], v15, s[4:5] offset:40
	global_load_b64 v[30:31], v15, s[4:5]
	s_mov_b32 s14, exec_lo
	s_wait_loadcnt 0x1
	v_and_b32_e32 v4, v4, v32
	v_and_b32_e32 v5, v5, v33
	s_delay_alu instid0(VALU_DEP_1) | instskip(SKIP_1) | instid1(VALU_DEP_1)
	v_mul_u64_e32 v[4:5], 24, v[4:5]
	s_wait_loadcnt 0x0
	v_add_nc_u64_e32 v[4:5], v[30:31], v[4:5]
	global_load_b64 v[30:31], v[4:5], off scope:SCOPE_SYS
	s_wait_xcnt 0x0
	s_wait_loadcnt 0x0
	global_atomic_cmpswap_b64 v[4:5], v15, v[30:33], s[4:5] offset:24 th:TH_ATOMIC_RETURN scope:SCOPE_SYS
	s_wait_loadcnt 0x0
	global_inv scope:SCOPE_SYS
	s_wait_xcnt 0x0
	v_cmpx_ne_u64_e64 v[4:5], v[32:33]
	s_cbranch_execz .LBB0_324
; %bb.321:                              ;   in Loop: Header=BB0_270 Depth=1
	s_mov_b32 s15, 0
.LBB0_322:                              ;   Parent Loop BB0_270 Depth=1
                                        ; =>  This Inner Loop Header: Depth=2
	s_sleep 1
	s_clause 0x1
	global_load_b64 v[30:31], v15, s[4:5] offset:40
	global_load_b64 v[36:37], v15, s[4:5]
	v_mov_b64_e32 v[32:33], v[4:5]
	s_wait_loadcnt 0x1
	s_delay_alu instid0(VALU_DEP_1) | instskip(SKIP_1) | instid1(VALU_DEP_1)
	v_and_b32_e32 v1, v30, v32
	s_wait_loadcnt 0x0
	v_mad_nc_u64_u32 v[4:5], v1, 24, v[36:37]
	s_delay_alu instid0(VALU_DEP_3) | instskip(NEXT) | instid1(VALU_DEP_1)
	v_and_b32_e32 v1, v31, v33
	v_mad_u32 v5, v1, 24, v5
	global_load_b64 v[30:31], v[4:5], off scope:SCOPE_SYS
	s_wait_xcnt 0x0
	s_wait_loadcnt 0x0
	global_atomic_cmpswap_b64 v[4:5], v15, v[30:33], s[4:5] offset:24 th:TH_ATOMIC_RETURN scope:SCOPE_SYS
	s_wait_loadcnt 0x0
	global_inv scope:SCOPE_SYS
	v_cmp_eq_u64_e32 vcc_lo, v[4:5], v[32:33]
	s_or_b32 s15, vcc_lo, s15
	s_wait_xcnt 0x0
	s_and_not1_b32 exec_lo, exec_lo, s15
	s_cbranch_execnz .LBB0_322
; %bb.323:                              ;   in Loop: Header=BB0_270 Depth=1
	s_or_b32 exec_lo, exec_lo, s15
.LBB0_324:                              ;   in Loop: Header=BB0_270 Depth=1
	s_delay_alu instid0(SALU_CYCLE_1)
	s_or_b32 exec_lo, exec_lo, s14
.LBB0_325:                              ;   in Loop: Header=BB0_270 Depth=1
	s_delay_alu instid0(SALU_CYCLE_1)
	s_or_b32 exec_lo, exec_lo, s1
	s_clause 0x1
	global_load_b64 v[36:37], v15, s[4:5] offset:40
	global_load_b128 v[30:33], v15, s[4:5]
	v_readfirstlane_b32 s14, v4
	v_readfirstlane_b32 s15, v5
	s_mov_b32 s1, exec_lo
	s_wait_loadcnt 0x1
	v_and_b32_e32 v36, s14, v36
	v_and_b32_e32 v37, s15, v37
	s_delay_alu instid0(VALU_DEP_1) | instskip(SKIP_1) | instid1(VALU_DEP_1)
	v_mul_u64_e32 v[4:5], 24, v[36:37]
	s_wait_loadcnt 0x0
	v_add_nc_u64_e32 v[4:5], v[30:31], v[4:5]
	s_wait_xcnt 0x0
	s_and_saveexec_b32 s16, s0
	s_cbranch_execz .LBB0_327
; %bb.326:                              ;   in Loop: Header=BB0_270 Depth=1
	v_mov_b32_e32 v14, s1
	global_store_b128 v[4:5], v[14:17], off offset:8
.LBB0_327:                              ;   in Loop: Header=BB0_270 Depth=1
	s_wait_xcnt 0x0
	s_or_b32 exec_lo, exec_lo, s16
	v_cmp_lt_u64_e64 vcc_lo, s[10:11], 57
	v_lshlrev_b64_e32 v[36:37], 12, v[36:37]
	v_and_b32_e32 v3, 0xffffff1f, v10
	s_lshl_b32 s1, s12, 2
	s_delay_alu instid0(SALU_CYCLE_1) | instskip(SKIP_1) | instid1(VALU_DEP_3)
	s_add_co_i32 s1, s1, 28
	v_cndmask_b32_e32 v1, 0, v0, vcc_lo
	v_add_nc_u64_e32 v[32:33], v[32:33], v[36:37]
	s_delay_alu instid0(VALU_DEP_2) | instskip(NEXT) | instid1(VALU_DEP_2)
	v_or_b32_e32 v1, v3, v1
	v_readfirstlane_b32 s16, v32
	s_delay_alu instid0(VALU_DEP_3) | instskip(NEXT) | instid1(VALU_DEP_3)
	v_readfirstlane_b32 s17, v33
	v_and_or_b32 v10, 0x1e0, s1, v1
	s_clause 0x3
	global_store_b128 v34, v[10:13], s[16:17]
	global_store_b128 v34, v[18:21], s[16:17] offset:16
	global_store_b128 v34, v[22:25], s[16:17] offset:32
	;; [unrolled: 1-line block ×3, first 2 shown]
	s_wait_xcnt 0x0
	s_and_saveexec_b32 s1, s0
	s_cbranch_execz .LBB0_335
; %bb.328:                              ;   in Loop: Header=BB0_270 Depth=1
	s_clause 0x1
	global_load_b64 v[22:23], v15, s[4:5] offset:32 scope:SCOPE_SYS
	global_load_b64 v[10:11], v15, s[4:5] offset:40
	s_mov_b32 s16, exec_lo
	v_dual_mov_b32 v20, s14 :: v_dual_mov_b32 v21, s15
	s_wait_loadcnt 0x0
	v_and_b32_e32 v11, s15, v11
	v_and_b32_e32 v10, s14, v10
	s_delay_alu instid0(VALU_DEP_1) | instskip(NEXT) | instid1(VALU_DEP_1)
	v_mul_u64_e32 v[10:11], 24, v[10:11]
	v_add_nc_u64_e32 v[18:19], v[30:31], v[10:11]
	global_store_b64 v[18:19], v[22:23], off
	global_wb scope:SCOPE_SYS
	s_wait_storecnt 0x0
	s_wait_xcnt 0x0
	global_atomic_cmpswap_b64 v[12:13], v15, v[20:23], s[4:5] offset:32 th:TH_ATOMIC_RETURN scope:SCOPE_SYS
	s_wait_loadcnt 0x0
	v_cmpx_ne_u64_e64 v[12:13], v[22:23]
	s_cbranch_execz .LBB0_331
; %bb.329:                              ;   in Loop: Header=BB0_270 Depth=1
	s_mov_b32 s17, 0
.LBB0_330:                              ;   Parent Loop BB0_270 Depth=1
                                        ; =>  This Inner Loop Header: Depth=2
	v_dual_mov_b32 v10, s14 :: v_dual_mov_b32 v11, s15
	s_sleep 1
	global_store_b64 v[18:19], v[12:13], off
	global_wb scope:SCOPE_SYS
	s_wait_storecnt 0x0
	s_wait_xcnt 0x0
	global_atomic_cmpswap_b64 v[10:11], v15, v[10:13], s[4:5] offset:32 th:TH_ATOMIC_RETURN scope:SCOPE_SYS
	s_wait_loadcnt 0x0
	v_cmp_eq_u64_e32 vcc_lo, v[10:11], v[12:13]
	v_mov_b64_e32 v[12:13], v[10:11]
	s_or_b32 s17, vcc_lo, s17
	s_delay_alu instid0(SALU_CYCLE_1)
	s_and_not1_b32 exec_lo, exec_lo, s17
	s_cbranch_execnz .LBB0_330
.LBB0_331:                              ;   in Loop: Header=BB0_270 Depth=1
	s_or_b32 exec_lo, exec_lo, s16
	global_load_b64 v[10:11], v15, s[4:5] offset:16
	s_mov_b32 s17, exec_lo
	s_mov_b32 s16, exec_lo
	v_mbcnt_lo_u32_b32 v1, s17, 0
	s_wait_xcnt 0x0
	s_delay_alu instid0(VALU_DEP_1)
	v_cmpx_eq_u32_e32 0, v1
	s_cbranch_execz .LBB0_333
; %bb.332:                              ;   in Loop: Header=BB0_270 Depth=1
	s_bcnt1_i32_b32 s17, s17
	s_delay_alu instid0(SALU_CYCLE_1)
	v_mov_b32_e32 v14, s17
	global_wb scope:SCOPE_SYS
	s_wait_loadcnt 0x0
	s_wait_storecnt 0x0
	global_atomic_add_u64 v[10:11], v[14:15], off offset:8 scope:SCOPE_SYS
.LBB0_333:                              ;   in Loop: Header=BB0_270 Depth=1
	s_wait_xcnt 0x0
	s_or_b32 exec_lo, exec_lo, s16
	s_wait_loadcnt 0x0
	global_load_b64 v[12:13], v[10:11], off offset:16
	s_wait_loadcnt 0x0
	v_cmp_eq_u64_e32 vcc_lo, 0, v[12:13]
	s_cbranch_vccnz .LBB0_335
; %bb.334:                              ;   in Loop: Header=BB0_270 Depth=1
	global_load_b32 v14, v[10:11], off offset:24
	s_wait_loadcnt 0x0
	v_readfirstlane_b32 s16, v14
	global_wb scope:SCOPE_SYS
	s_wait_storecnt 0x0
	s_wait_xcnt 0x0
	global_store_b64 v[12:13], v[14:15], off scope:SCOPE_SYS
	s_and_b32 m0, s16, 0xffffff
	s_sendmsg sendmsg(MSG_INTERRUPT)
.LBB0_335:                              ;   in Loop: Header=BB0_270 Depth=1
	s_wait_xcnt 0x0
	s_or_b32 exec_lo, exec_lo, s1
	v_mov_b32_e32 v35, v15
	s_delay_alu instid0(VALU_DEP_1)
	v_add_nc_u64_e32 v[10:11], v[32:33], v[34:35]
	s_branch .LBB0_339
.LBB0_336:                              ;   in Loop: Header=BB0_339 Depth=2
	s_wait_xcnt 0x0
	s_or_b32 exec_lo, exec_lo, s1
	s_delay_alu instid0(VALU_DEP_1)
	v_readfirstlane_b32 s1, v1
	s_cmp_eq_u32 s1, 0
	s_cbranch_scc1 .LBB0_338
; %bb.337:                              ;   in Loop: Header=BB0_339 Depth=2
	s_sleep 1
	s_cbranch_execnz .LBB0_339
	s_branch .LBB0_341
.LBB0_338:                              ;   in Loop: Header=BB0_270 Depth=1
	s_branch .LBB0_341
.LBB0_339:                              ;   Parent Loop BB0_270 Depth=1
                                        ; =>  This Inner Loop Header: Depth=2
	v_mov_b32_e32 v1, 1
	s_and_saveexec_b32 s1, s0
	s_cbranch_execz .LBB0_336
; %bb.340:                              ;   in Loop: Header=BB0_339 Depth=2
	global_load_b32 v1, v[4:5], off offset:20 scope:SCOPE_SYS
	s_wait_loadcnt 0x0
	global_inv scope:SCOPE_SYS
	v_and_b32_e32 v1, 1, v1
	s_branch .LBB0_336
.LBB0_341:                              ;   in Loop: Header=BB0_270 Depth=1
	global_load_b64 v[10:11], v[10:11], off
	s_wait_xcnt 0x0
	s_and_saveexec_b32 s16, s0
	s_cbranch_execz .LBB0_269
; %bb.342:                              ;   in Loop: Header=BB0_270 Depth=1
	s_clause 0x2
	global_load_b64 v[4:5], v15, s[4:5] offset:40
	global_load_b64 v[22:23], v15, s[4:5] offset:24 scope:SCOPE_SYS
	global_load_b64 v[12:13], v15, s[4:5]
	s_wait_loadcnt 0x2
	v_readfirstlane_b32 s20, v4
	v_readfirstlane_b32 s21, v5
	s_add_nc_u64 s[0:1], s[20:21], 1
	s_delay_alu instid0(SALU_CYCLE_1) | instskip(NEXT) | instid1(SALU_CYCLE_1)
	s_add_nc_u64 s[14:15], s[0:1], s[14:15]
	s_cmp_eq_u64 s[14:15], 0
	s_cselect_b32 s1, s1, s15
	s_cselect_b32 s0, s0, s14
	s_delay_alu instid0(SALU_CYCLE_1) | instskip(SKIP_1) | instid1(SALU_CYCLE_1)
	v_dual_mov_b32 v21, s1 :: v_dual_mov_b32 v20, s0
	s_and_b64 s[14:15], s[0:1], s[20:21]
	s_mul_u64 s[14:15], s[14:15], 24
	s_wait_loadcnt 0x0
	v_add_nc_u64_e32 v[4:5], s[14:15], v[12:13]
	global_store_b64 v[4:5], v[22:23], off
	global_wb scope:SCOPE_SYS
	s_wait_storecnt 0x0
	s_wait_xcnt 0x0
	global_atomic_cmpswap_b64 v[20:21], v15, v[20:23], s[4:5] offset:24 th:TH_ATOMIC_RETURN scope:SCOPE_SYS
	s_wait_loadcnt 0x0
	v_cmp_ne_u64_e32 vcc_lo, v[20:21], v[22:23]
	s_and_b32 exec_lo, exec_lo, vcc_lo
	s_cbranch_execz .LBB0_269
; %bb.343:                              ;   in Loop: Header=BB0_270 Depth=1
	s_mov_b32 s14, 0
.LBB0_344:                              ;   Parent Loop BB0_270 Depth=1
                                        ; =>  This Inner Loop Header: Depth=2
	v_dual_mov_b32 v18, s0 :: v_dual_mov_b32 v19, s1
	s_sleep 1
	global_store_b64 v[4:5], v[20:21], off
	global_wb scope:SCOPE_SYS
	s_wait_storecnt 0x0
	s_wait_xcnt 0x0
	global_atomic_cmpswap_b64 v[12:13], v15, v[18:21], s[4:5] offset:24 th:TH_ATOMIC_RETURN scope:SCOPE_SYS
	s_wait_loadcnt 0x0
	v_cmp_eq_u64_e32 vcc_lo, v[12:13], v[20:21]
	v_mov_b64_e32 v[20:21], v[12:13]
	s_or_b32 s14, vcc_lo, s14
	s_delay_alu instid0(SALU_CYCLE_1)
	s_and_not1_b32 exec_lo, exec_lo, s14
	s_cbranch_execnz .LBB0_344
	s_branch .LBB0_269
.LBB0_345:
	s_branch .LBB0_374
.LBB0_346:
                                        ; implicit-def: $vgpr10_vgpr11
	s_cbranch_execz .LBB0_374
; %bb.347:
	v_readfirstlane_b32 s0, v38
	v_mov_b64_e32 v[0:1], 0
	s_delay_alu instid0(VALU_DEP_2)
	v_cmp_eq_u32_e64 s0, s0, v38
	s_and_saveexec_b32 s1, s0
	s_cbranch_execz .LBB0_353
; %bb.348:
	v_mov_b32_e32 v3, 0
	s_mov_b32 s2, exec_lo
	global_load_b64 v[12:13], v3, s[4:5] offset:24 scope:SCOPE_SYS
	s_wait_loadcnt 0x0
	global_inv scope:SCOPE_SYS
	s_clause 0x1
	global_load_b64 v[0:1], v3, s[4:5] offset:40
	global_load_b64 v[4:5], v3, s[4:5]
	s_wait_loadcnt 0x1
	v_and_b32_e32 v0, v0, v12
	v_and_b32_e32 v1, v1, v13
	s_delay_alu instid0(VALU_DEP_1) | instskip(SKIP_1) | instid1(VALU_DEP_1)
	v_mul_u64_e32 v[0:1], 24, v[0:1]
	s_wait_loadcnt 0x0
	v_add_nc_u64_e32 v[0:1], v[4:5], v[0:1]
	global_load_b64 v[10:11], v[0:1], off scope:SCOPE_SYS
	s_wait_xcnt 0x0
	s_wait_loadcnt 0x0
	global_atomic_cmpswap_b64 v[0:1], v3, v[10:13], s[4:5] offset:24 th:TH_ATOMIC_RETURN scope:SCOPE_SYS
	s_wait_loadcnt 0x0
	global_inv scope:SCOPE_SYS
	s_wait_xcnt 0x0
	v_cmpx_ne_u64_e64 v[0:1], v[12:13]
	s_cbranch_execz .LBB0_352
; %bb.349:
	s_mov_b32 s3, 0
.LBB0_350:                              ; =>This Inner Loop Header: Depth=1
	s_sleep 1
	s_clause 0x1
	global_load_b64 v[4:5], v3, s[4:5] offset:40
	global_load_b64 v[10:11], v3, s[4:5]
	v_mov_b64_e32 v[12:13], v[0:1]
	s_wait_loadcnt 0x1
	s_delay_alu instid0(VALU_DEP_1) | instskip(NEXT) | instid1(VALU_DEP_2)
	v_and_b32_e32 v0, v4, v12
	v_and_b32_e32 v4, v5, v13
	s_wait_loadcnt 0x0
	s_delay_alu instid0(VALU_DEP_2) | instskip(NEXT) | instid1(VALU_DEP_1)
	v_mad_nc_u64_u32 v[0:1], v0, 24, v[10:11]
	v_mad_u32 v1, v4, 24, v1
	global_load_b64 v[10:11], v[0:1], off scope:SCOPE_SYS
	s_wait_xcnt 0x0
	s_wait_loadcnt 0x0
	global_atomic_cmpswap_b64 v[0:1], v3, v[10:13], s[4:5] offset:24 th:TH_ATOMIC_RETURN scope:SCOPE_SYS
	s_wait_loadcnt 0x0
	global_inv scope:SCOPE_SYS
	v_cmp_eq_u64_e32 vcc_lo, v[0:1], v[12:13]
	s_or_b32 s3, vcc_lo, s3
	s_wait_xcnt 0x0
	s_and_not1_b32 exec_lo, exec_lo, s3
	s_cbranch_execnz .LBB0_350
; %bb.351:
	s_or_b32 exec_lo, exec_lo, s3
.LBB0_352:
	s_delay_alu instid0(SALU_CYCLE_1)
	s_or_b32 exec_lo, exec_lo, s2
.LBB0_353:
	s_delay_alu instid0(SALU_CYCLE_1)
	s_or_b32 exec_lo, exec_lo, s1
	v_readfirstlane_b32 s2, v0
	v_mov_b32_e32 v35, 0
	v_readfirstlane_b32 s3, v1
	s_mov_b32 s1, exec_lo
	s_clause 0x1
	global_load_b64 v[4:5], v35, s[4:5] offset:40
	global_load_b128 v[12:15], v35, s[4:5]
	s_wait_loadcnt 0x1
	v_and_b32_e32 v4, s2, v4
	v_and_b32_e32 v5, s3, v5
	s_delay_alu instid0(VALU_DEP_1) | instskip(SKIP_1) | instid1(VALU_DEP_1)
	v_mul_u64_e32 v[0:1], 24, v[4:5]
	s_wait_loadcnt 0x0
	v_add_nc_u64_e32 v[0:1], v[12:13], v[0:1]
	s_wait_xcnt 0x0
	s_and_saveexec_b32 s10, s0
	s_cbranch_execz .LBB0_355
; %bb.354:
	v_mov_b64_e32 v[18:19], 0x100000002
	v_dual_mov_b32 v16, s1 :: v_dual_mov_b32 v17, v35
	global_store_b128 v[0:1], v[16:19], off offset:8
.LBB0_355:
	s_wait_xcnt 0x0
	s_or_b32 exec_lo, exec_lo, s10
	v_lshlrev_b64_e32 v[4:5], 12, v[4:5]
	s_mov_b32 s12, 0
	v_and_or_b32 v8, 0xffffff1f, v8, 32
	s_mov_b32 s14, s12
	s_mov_b32 s15, s12
	;; [unrolled: 1-line block ×3, first 2 shown]
	v_dual_mov_b32 v10, v35 :: v_dual_mov_b32 v11, v35
	v_add_nc_u64_e32 v[4:5], v[14:15], v[4:5]
	v_mov_b64_e32 v[16:17], s[14:15]
	v_mov_b64_e32 v[14:15], s[12:13]
	s_delay_alu instid0(VALU_DEP_3) | instskip(NEXT) | instid1(VALU_DEP_4)
	v_readfirstlane_b32 s10, v4
	v_readfirstlane_b32 s11, v5
	s_clause 0x3
	global_store_b128 v34, v[8:11], s[10:11]
	global_store_b128 v34, v[14:17], s[10:11] offset:16
	global_store_b128 v34, v[14:17], s[10:11] offset:32
	;; [unrolled: 1-line block ×3, first 2 shown]
	s_wait_xcnt 0x0
	s_and_saveexec_b32 s1, s0
	s_cbranch_execz .LBB0_363
; %bb.356:
	v_dual_mov_b32 v3, 0 :: v_dual_mov_b32 v15, s3
	s_mov_b32 s10, exec_lo
	s_clause 0x1
	global_load_b64 v[16:17], v3, s[4:5] offset:32 scope:SCOPE_SYS
	global_load_b64 v[8:9], v3, s[4:5] offset:40
	s_wait_loadcnt 0x0
	v_dual_mov_b32 v14, s2 :: v_dual_bitop2_b32 v9, s3, v9 bitop3:0x40
	v_and_b32_e32 v8, s2, v8
	s_delay_alu instid0(VALU_DEP_1) | instskip(NEXT) | instid1(VALU_DEP_1)
	v_mul_u64_e32 v[8:9], 24, v[8:9]
	v_add_nc_u64_e32 v[12:13], v[12:13], v[8:9]
	global_store_b64 v[12:13], v[16:17], off
	global_wb scope:SCOPE_SYS
	s_wait_storecnt 0x0
	s_wait_xcnt 0x0
	global_atomic_cmpswap_b64 v[10:11], v3, v[14:17], s[4:5] offset:32 th:TH_ATOMIC_RETURN scope:SCOPE_SYS
	s_wait_loadcnt 0x0
	v_cmpx_ne_u64_e64 v[10:11], v[16:17]
	s_cbranch_execz .LBB0_359
; %bb.357:
	s_mov_b32 s11, 0
.LBB0_358:                              ; =>This Inner Loop Header: Depth=1
	v_dual_mov_b32 v8, s2 :: v_dual_mov_b32 v9, s3
	s_sleep 1
	global_store_b64 v[12:13], v[10:11], off
	global_wb scope:SCOPE_SYS
	s_wait_storecnt 0x0
	s_wait_xcnt 0x0
	global_atomic_cmpswap_b64 v[8:9], v3, v[8:11], s[4:5] offset:32 th:TH_ATOMIC_RETURN scope:SCOPE_SYS
	s_wait_loadcnt 0x0
	v_cmp_eq_u64_e32 vcc_lo, v[8:9], v[10:11]
	v_mov_b64_e32 v[10:11], v[8:9]
	s_or_b32 s11, vcc_lo, s11
	s_delay_alu instid0(SALU_CYCLE_1)
	s_and_not1_b32 exec_lo, exec_lo, s11
	s_cbranch_execnz .LBB0_358
.LBB0_359:
	s_or_b32 exec_lo, exec_lo, s10
	v_mov_b32_e32 v11, 0
	s_mov_b32 s11, exec_lo
	s_mov_b32 s10, exec_lo
	v_mbcnt_lo_u32_b32 v3, s11, 0
	global_load_b64 v[8:9], v11, s[4:5] offset:16
	s_wait_xcnt 0x0
	v_cmpx_eq_u32_e32 0, v3
	s_cbranch_execz .LBB0_361
; %bb.360:
	s_bcnt1_i32_b32 s11, s11
	s_delay_alu instid0(SALU_CYCLE_1)
	v_mov_b32_e32 v10, s11
	global_wb scope:SCOPE_SYS
	s_wait_loadcnt 0x0
	s_wait_storecnt 0x0
	global_atomic_add_u64 v[8:9], v[10:11], off offset:8 scope:SCOPE_SYS
.LBB0_361:
	s_wait_xcnt 0x0
	s_or_b32 exec_lo, exec_lo, s10
	s_wait_loadcnt 0x0
	global_load_b64 v[10:11], v[8:9], off offset:16
	s_wait_loadcnt 0x0
	v_cmp_eq_u64_e32 vcc_lo, 0, v[10:11]
	s_cbranch_vccnz .LBB0_363
; %bb.362:
	global_load_b32 v8, v[8:9], off offset:24
	s_wait_xcnt 0x0
	v_mov_b32_e32 v9, 0
	s_wait_loadcnt 0x0
	v_readfirstlane_b32 s10, v8
	global_wb scope:SCOPE_SYS
	s_wait_storecnt 0x0
	global_store_b64 v[10:11], v[8:9], off scope:SCOPE_SYS
	s_and_b32 m0, s10, 0xffffff
	s_sendmsg sendmsg(MSG_INTERRUPT)
.LBB0_363:
	s_wait_xcnt 0x0
	s_or_b32 exec_lo, exec_lo, s1
	v_add_nc_u64_e32 v[4:5], v[4:5], v[34:35]
	s_branch .LBB0_367
.LBB0_364:                              ;   in Loop: Header=BB0_367 Depth=1
	s_wait_xcnt 0x0
	s_or_b32 exec_lo, exec_lo, s1
	s_delay_alu instid0(VALU_DEP_1)
	v_readfirstlane_b32 s1, v3
	s_cmp_eq_u32 s1, 0
	s_cbranch_scc1 .LBB0_366
; %bb.365:                              ;   in Loop: Header=BB0_367 Depth=1
	s_sleep 1
	s_cbranch_execnz .LBB0_367
	s_branch .LBB0_369
.LBB0_366:
	s_branch .LBB0_369
.LBB0_367:                              ; =>This Inner Loop Header: Depth=1
	v_mov_b32_e32 v3, 1
	s_and_saveexec_b32 s1, s0
	s_cbranch_execz .LBB0_364
; %bb.368:                              ;   in Loop: Header=BB0_367 Depth=1
	global_load_b32 v3, v[0:1], off offset:20 scope:SCOPE_SYS
	s_wait_loadcnt 0x0
	global_inv scope:SCOPE_SYS
	v_and_b32_e32 v3, 1, v3
	s_branch .LBB0_364
.LBB0_369:
	global_load_b64 v[10:11], v[4:5], off
	s_wait_xcnt 0x0
	s_and_saveexec_b32 s10, s0
	s_cbranch_execz .LBB0_373
; %bb.370:
	v_mov_b32_e32 v3, 0
	s_clause 0x2
	global_load_b64 v[0:1], v3, s[4:5] offset:40
	global_load_b64 v[16:17], v3, s[4:5] offset:24 scope:SCOPE_SYS
	global_load_b64 v[4:5], v3, s[4:5]
	s_wait_loadcnt 0x2
	v_readfirstlane_b32 s12, v0
	v_readfirstlane_b32 s13, v1
	s_add_nc_u64 s[0:1], s[12:13], 1
	s_delay_alu instid0(SALU_CYCLE_1) | instskip(NEXT) | instid1(SALU_CYCLE_1)
	s_add_nc_u64 s[2:3], s[0:1], s[2:3]
	s_cmp_eq_u64 s[2:3], 0
	s_cselect_b32 s1, s1, s3
	s_cselect_b32 s0, s0, s2
	v_mov_b32_e32 v15, s1
	s_and_b64 s[2:3], s[0:1], s[12:13]
	v_mov_b32_e32 v14, s0
	s_mul_u64 s[2:3], s[2:3], 24
	s_wait_loadcnt 0x0
	v_add_nc_u64_e32 v[0:1], s[2:3], v[4:5]
	global_store_b64 v[0:1], v[16:17], off
	global_wb scope:SCOPE_SYS
	s_wait_storecnt 0x0
	s_wait_xcnt 0x0
	global_atomic_cmpswap_b64 v[14:15], v3, v[14:17], s[4:5] offset:24 th:TH_ATOMIC_RETURN scope:SCOPE_SYS
	s_wait_loadcnt 0x0
	v_cmp_ne_u64_e32 vcc_lo, v[14:15], v[16:17]
	s_and_b32 exec_lo, exec_lo, vcc_lo
	s_cbranch_execz .LBB0_373
; %bb.371:
	s_mov_b32 s2, 0
.LBB0_372:                              ; =>This Inner Loop Header: Depth=1
	v_dual_mov_b32 v12, s0 :: v_dual_mov_b32 v13, s1
	s_sleep 1
	global_store_b64 v[0:1], v[14:15], off
	global_wb scope:SCOPE_SYS
	s_wait_storecnt 0x0
	s_wait_xcnt 0x0
	global_atomic_cmpswap_b64 v[4:5], v3, v[12:15], s[4:5] offset:24 th:TH_ATOMIC_RETURN scope:SCOPE_SYS
	s_wait_loadcnt 0x0
	v_cmp_eq_u64_e32 vcc_lo, v[4:5], v[14:15]
	v_mov_b64_e32 v[14:15], v[4:5]
	s_or_b32 s2, vcc_lo, s2
	s_delay_alu instid0(SALU_CYCLE_1)
	s_and_not1_b32 exec_lo, exec_lo, s2
	s_cbranch_execnz .LBB0_372
.LBB0_373:
	s_or_b32 exec_lo, exec_lo, s10
.LBB0_374:
	v_readfirstlane_b32 s0, v38
	v_mov_b64_e32 v[0:1], 0
	s_delay_alu instid0(VALU_DEP_2)
	v_cmp_eq_u32_e64 s0, s0, v38
	s_and_saveexec_b32 s1, s0
	s_cbranch_execz .LBB0_380
; %bb.375:
	v_mov_b32_e32 v3, 0
	s_mov_b32 s2, exec_lo
	global_load_b64 v[14:15], v3, s[4:5] offset:24 scope:SCOPE_SYS
	s_wait_loadcnt 0x0
	global_inv scope:SCOPE_SYS
	s_clause 0x1
	global_load_b64 v[0:1], v3, s[4:5] offset:40
	global_load_b64 v[4:5], v3, s[4:5]
	s_wait_loadcnt 0x1
	v_and_b32_e32 v0, v0, v14
	v_and_b32_e32 v1, v1, v15
	s_delay_alu instid0(VALU_DEP_1) | instskip(SKIP_1) | instid1(VALU_DEP_1)
	v_mul_u64_e32 v[0:1], 24, v[0:1]
	s_wait_loadcnt 0x0
	v_add_nc_u64_e32 v[0:1], v[4:5], v[0:1]
	global_load_b64 v[12:13], v[0:1], off scope:SCOPE_SYS
	s_wait_xcnt 0x0
	s_wait_loadcnt 0x0
	global_atomic_cmpswap_b64 v[0:1], v3, v[12:15], s[4:5] offset:24 th:TH_ATOMIC_RETURN scope:SCOPE_SYS
	s_wait_loadcnt 0x0
	global_inv scope:SCOPE_SYS
	s_wait_xcnt 0x0
	v_cmpx_ne_u64_e64 v[0:1], v[14:15]
	s_cbranch_execz .LBB0_379
; %bb.376:
	s_mov_b32 s3, 0
.LBB0_377:                              ; =>This Inner Loop Header: Depth=1
	s_sleep 1
	s_clause 0x1
	global_load_b64 v[4:5], v3, s[4:5] offset:40
	global_load_b64 v[8:9], v3, s[4:5]
	v_mov_b64_e32 v[14:15], v[0:1]
	s_wait_loadcnt 0x1
	s_delay_alu instid0(VALU_DEP_1) | instskip(NEXT) | instid1(VALU_DEP_2)
	v_and_b32_e32 v0, v4, v14
	v_and_b32_e32 v4, v5, v15
	s_wait_loadcnt 0x0
	s_delay_alu instid0(VALU_DEP_2) | instskip(NEXT) | instid1(VALU_DEP_1)
	v_mad_nc_u64_u32 v[0:1], v0, 24, v[8:9]
	v_mad_u32 v1, v4, 24, v1
	global_load_b64 v[12:13], v[0:1], off scope:SCOPE_SYS
	s_wait_xcnt 0x0
	s_wait_loadcnt 0x0
	global_atomic_cmpswap_b64 v[0:1], v3, v[12:15], s[4:5] offset:24 th:TH_ATOMIC_RETURN scope:SCOPE_SYS
	s_wait_loadcnt 0x0
	global_inv scope:SCOPE_SYS
	v_cmp_eq_u64_e32 vcc_lo, v[0:1], v[14:15]
	s_or_b32 s3, vcc_lo, s3
	s_wait_xcnt 0x0
	s_and_not1_b32 exec_lo, exec_lo, s3
	s_cbranch_execnz .LBB0_377
; %bb.378:
	s_or_b32 exec_lo, exec_lo, s3
.LBB0_379:
	s_delay_alu instid0(SALU_CYCLE_1)
	s_or_b32 exec_lo, exec_lo, s2
.LBB0_380:
	s_delay_alu instid0(SALU_CYCLE_1)
	s_or_b32 exec_lo, exec_lo, s1
	v_readfirstlane_b32 s2, v0
	v_mov_b32_e32 v35, 0
	v_readfirstlane_b32 s3, v1
	s_mov_b32 s1, exec_lo
	s_clause 0x1
	global_load_b64 v[4:5], v35, s[4:5] offset:40
	global_load_b128 v[14:17], v35, s[4:5]
	s_wait_loadcnt 0x1
	v_and_b32_e32 v4, s2, v4
	v_and_b32_e32 v5, s3, v5
	s_delay_alu instid0(VALU_DEP_1) | instskip(SKIP_1) | instid1(VALU_DEP_1)
	v_mul_u64_e32 v[0:1], 24, v[4:5]
	s_wait_loadcnt 0x0
	v_add_nc_u64_e32 v[0:1], v[14:15], v[0:1]
	s_wait_xcnt 0x0
	s_and_saveexec_b32 s10, s0
	s_cbranch_execz .LBB0_382
; %bb.381:
	v_mov_b64_e32 v[20:21], 0x100000002
	v_dual_mov_b32 v18, s1 :: v_dual_mov_b32 v19, v35
	global_store_b128 v[0:1], v[18:21], off offset:8
.LBB0_382:
	s_wait_xcnt 0x0
	s_or_b32 exec_lo, exec_lo, s10
	v_lshlrev_b64_e32 v[4:5], 12, v[4:5]
	s_mov_b32 s12, 0
	v_and_or_b32 v10, 0xffffff1f, v10, 32
	s_mov_b32 s14, s12
	s_mov_b32 s15, s12
	;; [unrolled: 1-line block ×3, first 2 shown]
	v_dual_mov_b32 v12, s18 :: v_dual_mov_b32 v13, v35
	v_add_nc_u64_e32 v[4:5], v[16:17], v[4:5]
	v_mov_b64_e32 v[18:19], s[14:15]
	v_mov_b64_e32 v[16:17], s[12:13]
	s_delay_alu instid0(VALU_DEP_3) | instskip(NEXT) | instid1(VALU_DEP_4)
	v_readfirstlane_b32 s10, v4
	v_readfirstlane_b32 s11, v5
	s_clause 0x3
	global_store_b128 v34, v[10:13], s[10:11]
	global_store_b128 v34, v[16:19], s[10:11] offset:16
	global_store_b128 v34, v[16:19], s[10:11] offset:32
	;; [unrolled: 1-line block ×3, first 2 shown]
	s_wait_xcnt 0x0
	s_and_saveexec_b32 s1, s0
	s_cbranch_execz .LBB0_390
; %bb.383:
	v_mov_b32_e32 v3, 0
	s_mov_b32 s10, exec_lo
	s_clause 0x1
	global_load_b64 v[16:17], v3, s[4:5] offset:32 scope:SCOPE_SYS
	global_load_b64 v[8:9], v3, s[4:5] offset:40
	s_wait_loadcnt 0x0
	v_and_b32_e32 v8, s2, v8
	v_and_b32_e32 v9, s3, v9
	s_delay_alu instid0(VALU_DEP_1) | instskip(NEXT) | instid1(VALU_DEP_1)
	v_mul_u64_e32 v[8:9], 24, v[8:9]
	v_add_nc_u64_e32 v[12:13], v[14:15], v[8:9]
	v_dual_mov_b32 v14, s2 :: v_dual_mov_b32 v15, s3
	global_store_b64 v[12:13], v[16:17], off
	global_wb scope:SCOPE_SYS
	s_wait_storecnt 0x0
	s_wait_xcnt 0x0
	global_atomic_cmpswap_b64 v[10:11], v3, v[14:17], s[4:5] offset:32 th:TH_ATOMIC_RETURN scope:SCOPE_SYS
	s_wait_loadcnt 0x0
	v_cmpx_ne_u64_e64 v[10:11], v[16:17]
	s_cbranch_execz .LBB0_386
; %bb.384:
	s_mov_b32 s11, 0
.LBB0_385:                              ; =>This Inner Loop Header: Depth=1
	v_dual_mov_b32 v8, s2 :: v_dual_mov_b32 v9, s3
	s_sleep 1
	global_store_b64 v[12:13], v[10:11], off
	global_wb scope:SCOPE_SYS
	s_wait_storecnt 0x0
	s_wait_xcnt 0x0
	global_atomic_cmpswap_b64 v[8:9], v3, v[8:11], s[4:5] offset:32 th:TH_ATOMIC_RETURN scope:SCOPE_SYS
	s_wait_loadcnt 0x0
	v_cmp_eq_u64_e32 vcc_lo, v[8:9], v[10:11]
	v_mov_b64_e32 v[10:11], v[8:9]
	s_or_b32 s11, vcc_lo, s11
	s_delay_alu instid0(SALU_CYCLE_1)
	s_and_not1_b32 exec_lo, exec_lo, s11
	s_cbranch_execnz .LBB0_385
.LBB0_386:
	s_or_b32 exec_lo, exec_lo, s10
	v_mov_b32_e32 v11, 0
	s_mov_b32 s11, exec_lo
	s_mov_b32 s10, exec_lo
	v_mbcnt_lo_u32_b32 v3, s11, 0
	global_load_b64 v[8:9], v11, s[4:5] offset:16
	s_wait_xcnt 0x0
	v_cmpx_eq_u32_e32 0, v3
	s_cbranch_execz .LBB0_388
; %bb.387:
	s_bcnt1_i32_b32 s11, s11
	s_delay_alu instid0(SALU_CYCLE_1)
	v_mov_b32_e32 v10, s11
	global_wb scope:SCOPE_SYS
	s_wait_loadcnt 0x0
	s_wait_storecnt 0x0
	global_atomic_add_u64 v[8:9], v[10:11], off offset:8 scope:SCOPE_SYS
.LBB0_388:
	s_wait_xcnt 0x0
	s_or_b32 exec_lo, exec_lo, s10
	s_wait_loadcnt 0x0
	global_load_b64 v[10:11], v[8:9], off offset:16
	s_wait_loadcnt 0x0
	v_cmp_eq_u64_e32 vcc_lo, 0, v[10:11]
	s_cbranch_vccnz .LBB0_390
; %bb.389:
	global_load_b32 v8, v[8:9], off offset:24
	s_wait_xcnt 0x0
	v_mov_b32_e32 v9, 0
	s_wait_loadcnt 0x0
	v_readfirstlane_b32 s10, v8
	global_wb scope:SCOPE_SYS
	s_wait_storecnt 0x0
	global_store_b64 v[10:11], v[8:9], off scope:SCOPE_SYS
	s_and_b32 m0, s10, 0xffffff
	s_sendmsg sendmsg(MSG_INTERRUPT)
.LBB0_390:
	s_wait_xcnt 0x0
	s_or_b32 exec_lo, exec_lo, s1
	v_add_nc_u64_e32 v[4:5], v[4:5], v[34:35]
	s_branch .LBB0_394
.LBB0_391:                              ;   in Loop: Header=BB0_394 Depth=1
	s_wait_xcnt 0x0
	s_or_b32 exec_lo, exec_lo, s1
	s_delay_alu instid0(VALU_DEP_1)
	v_readfirstlane_b32 s1, v3
	s_cmp_eq_u32 s1, 0
	s_cbranch_scc1 .LBB0_393
; %bb.392:                              ;   in Loop: Header=BB0_394 Depth=1
	s_sleep 1
	s_cbranch_execnz .LBB0_394
	s_branch .LBB0_396
.LBB0_393:
	s_branch .LBB0_396
.LBB0_394:                              ; =>This Inner Loop Header: Depth=1
	v_mov_b32_e32 v3, 1
	s_and_saveexec_b32 s1, s0
	s_cbranch_execz .LBB0_391
; %bb.395:                              ;   in Loop: Header=BB0_394 Depth=1
	global_load_b32 v3, v[0:1], off offset:20 scope:SCOPE_SYS
	s_wait_loadcnt 0x0
	global_inv scope:SCOPE_SYS
	v_and_b32_e32 v3, 1, v3
	s_branch .LBB0_391
.LBB0_396:
	global_load_b64 v[8:9], v[4:5], off
	s_wait_xcnt 0x0
	s_and_saveexec_b32 s10, s0
	s_cbranch_execz .LBB0_400
; %bb.397:
	v_mov_b32_e32 v3, 0
	s_clause 0x2
	global_load_b64 v[0:1], v3, s[4:5] offset:40
	global_load_b64 v[14:15], v3, s[4:5] offset:24 scope:SCOPE_SYS
	global_load_b64 v[4:5], v3, s[4:5]
	s_wait_loadcnt 0x2
	v_readfirstlane_b32 s12, v0
	v_readfirstlane_b32 s13, v1
	s_add_nc_u64 s[0:1], s[12:13], 1
	s_delay_alu instid0(SALU_CYCLE_1) | instskip(NEXT) | instid1(SALU_CYCLE_1)
	s_add_nc_u64 s[2:3], s[0:1], s[2:3]
	s_cmp_eq_u64 s[2:3], 0
	s_cselect_b32 s1, s1, s3
	s_cselect_b32 s0, s0, s2
	v_mov_b32_e32 v13, s1
	s_and_b64 s[2:3], s[0:1], s[12:13]
	v_mov_b32_e32 v12, s0
	s_mul_u64 s[2:3], s[2:3], 24
	s_wait_loadcnt 0x0
	v_add_nc_u64_e32 v[0:1], s[2:3], v[4:5]
	global_store_b64 v[0:1], v[14:15], off
	global_wb scope:SCOPE_SYS
	s_wait_storecnt 0x0
	s_wait_xcnt 0x0
	global_atomic_cmpswap_b64 v[12:13], v3, v[12:15], s[4:5] offset:24 th:TH_ATOMIC_RETURN scope:SCOPE_SYS
	s_wait_loadcnt 0x0
	v_cmp_ne_u64_e32 vcc_lo, v[12:13], v[14:15]
	s_and_b32 exec_lo, exec_lo, vcc_lo
	s_cbranch_execz .LBB0_400
; %bb.398:
	s_mov_b32 s2, 0
.LBB0_399:                              ; =>This Inner Loop Header: Depth=1
	v_dual_mov_b32 v10, s0 :: v_dual_mov_b32 v11, s1
	s_sleep 1
	global_store_b64 v[0:1], v[12:13], off
	global_wb scope:SCOPE_SYS
	s_wait_storecnt 0x0
	s_wait_xcnt 0x0
	global_atomic_cmpswap_b64 v[4:5], v3, v[10:13], s[4:5] offset:24 th:TH_ATOMIC_RETURN scope:SCOPE_SYS
	s_wait_loadcnt 0x0
	v_cmp_eq_u64_e32 vcc_lo, v[4:5], v[12:13]
	v_mov_b64_e32 v[12:13], v[4:5]
	s_or_b32 s2, vcc_lo, s2
	s_delay_alu instid0(SALU_CYCLE_1)
	s_and_not1_b32 exec_lo, exec_lo, s2
	s_cbranch_execnz .LBB0_399
.LBB0_400:
	s_or_b32 exec_lo, exec_lo, s10
	v_readfirstlane_b32 s0, v38
	v_mov_b64_e32 v[0:1], 0
	s_delay_alu instid0(VALU_DEP_2)
	v_cmp_eq_u32_e64 s0, s0, v38
	s_and_saveexec_b32 s1, s0
	s_cbranch_execz .LBB0_406
; %bb.401:
	v_mov_b32_e32 v3, 0
	s_mov_b32 s2, exec_lo
	global_load_b64 v[12:13], v3, s[4:5] offset:24 scope:SCOPE_SYS
	s_wait_loadcnt 0x0
	global_inv scope:SCOPE_SYS
	s_clause 0x1
	global_load_b64 v[0:1], v3, s[4:5] offset:40
	global_load_b64 v[4:5], v3, s[4:5]
	s_wait_loadcnt 0x1
	v_and_b32_e32 v0, v0, v12
	v_and_b32_e32 v1, v1, v13
	s_delay_alu instid0(VALU_DEP_1) | instskip(SKIP_1) | instid1(VALU_DEP_1)
	v_mul_u64_e32 v[0:1], 24, v[0:1]
	s_wait_loadcnt 0x0
	v_add_nc_u64_e32 v[0:1], v[4:5], v[0:1]
	global_load_b64 v[10:11], v[0:1], off scope:SCOPE_SYS
	s_wait_xcnt 0x0
	s_wait_loadcnt 0x0
	global_atomic_cmpswap_b64 v[0:1], v3, v[10:13], s[4:5] offset:24 th:TH_ATOMIC_RETURN scope:SCOPE_SYS
	s_wait_loadcnt 0x0
	global_inv scope:SCOPE_SYS
	s_wait_xcnt 0x0
	v_cmpx_ne_u64_e64 v[0:1], v[12:13]
	s_cbranch_execz .LBB0_405
; %bb.402:
	s_mov_b32 s3, 0
.LBB0_403:                              ; =>This Inner Loop Header: Depth=1
	s_sleep 1
	s_clause 0x1
	global_load_b64 v[4:5], v3, s[4:5] offset:40
	global_load_b64 v[10:11], v3, s[4:5]
	v_mov_b64_e32 v[12:13], v[0:1]
	s_wait_loadcnt 0x1
	s_delay_alu instid0(VALU_DEP_1) | instskip(NEXT) | instid1(VALU_DEP_2)
	v_and_b32_e32 v0, v4, v12
	v_and_b32_e32 v4, v5, v13
	s_wait_loadcnt 0x0
	s_delay_alu instid0(VALU_DEP_2) | instskip(NEXT) | instid1(VALU_DEP_1)
	v_mad_nc_u64_u32 v[0:1], v0, 24, v[10:11]
	v_mad_u32 v1, v4, 24, v1
	global_load_b64 v[10:11], v[0:1], off scope:SCOPE_SYS
	s_wait_xcnt 0x0
	s_wait_loadcnt 0x0
	global_atomic_cmpswap_b64 v[0:1], v3, v[10:13], s[4:5] offset:24 th:TH_ATOMIC_RETURN scope:SCOPE_SYS
	s_wait_loadcnt 0x0
	global_inv scope:SCOPE_SYS
	v_cmp_eq_u64_e32 vcc_lo, v[0:1], v[12:13]
	s_or_b32 s3, vcc_lo, s3
	s_wait_xcnt 0x0
	s_and_not1_b32 exec_lo, exec_lo, s3
	s_cbranch_execnz .LBB0_403
; %bb.404:
	s_or_b32 exec_lo, exec_lo, s3
.LBB0_405:
	s_delay_alu instid0(SALU_CYCLE_1)
	s_or_b32 exec_lo, exec_lo, s2
.LBB0_406:
	s_delay_alu instid0(SALU_CYCLE_1)
	s_or_b32 exec_lo, exec_lo, s1
	v_readfirstlane_b32 s2, v0
	v_mov_b32_e32 v35, 0
	v_readfirstlane_b32 s3, v1
	s_mov_b32 s1, exec_lo
	s_clause 0x1
	global_load_b64 v[4:5], v35, s[4:5] offset:40
	global_load_b128 v[12:15], v35, s[4:5]
	s_wait_loadcnt 0x1
	v_and_b32_e32 v4, s2, v4
	v_and_b32_e32 v5, s3, v5
	s_delay_alu instid0(VALU_DEP_1) | instskip(SKIP_1) | instid1(VALU_DEP_1)
	v_mul_u64_e32 v[0:1], 24, v[4:5]
	s_wait_loadcnt 0x0
	v_add_nc_u64_e32 v[0:1], v[12:13], v[0:1]
	s_wait_xcnt 0x0
	s_and_saveexec_b32 s10, s0
	s_cbranch_execz .LBB0_408
; %bb.407:
	v_mov_b64_e32 v[18:19], 0x100000002
	v_dual_mov_b32 v16, s1 :: v_dual_mov_b32 v17, v35
	global_store_b128 v[0:1], v[16:19], off offset:8
.LBB0_408:
	s_wait_xcnt 0x0
	s_or_b32 exec_lo, exec_lo, s10
	v_lshlrev_b64_e32 v[4:5], 12, v[4:5]
	s_mov_b32 s12, 0
	v_and_or_b32 v8, 0xffffff1f, v8, 32
	s_mov_b32 s14, s12
	s_mov_b32 s15, s12
	s_mov_b32 s13, s12
	v_dual_mov_b32 v10, s19 :: v_dual_mov_b32 v11, v35
	v_add_nc_u64_e32 v[4:5], v[14:15], v[4:5]
	v_mov_b64_e32 v[16:17], s[14:15]
	v_mov_b64_e32 v[14:15], s[12:13]
	s_delay_alu instid0(VALU_DEP_3) | instskip(NEXT) | instid1(VALU_DEP_4)
	v_readfirstlane_b32 s10, v4
	v_readfirstlane_b32 s11, v5
	s_clause 0x3
	global_store_b128 v34, v[8:11], s[10:11]
	global_store_b128 v34, v[14:17], s[10:11] offset:16
	global_store_b128 v34, v[14:17], s[10:11] offset:32
	;; [unrolled: 1-line block ×3, first 2 shown]
	s_wait_xcnt 0x0
	s_and_saveexec_b32 s1, s0
	s_cbranch_execz .LBB0_416
; %bb.409:
	v_dual_mov_b32 v3, 0 :: v_dual_mov_b32 v15, s3
	s_mov_b32 s10, exec_lo
	s_clause 0x1
	global_load_b64 v[16:17], v3, s[4:5] offset:32 scope:SCOPE_SYS
	global_load_b64 v[8:9], v3, s[4:5] offset:40
	s_wait_loadcnt 0x0
	v_dual_mov_b32 v14, s2 :: v_dual_bitop2_b32 v9, s3, v9 bitop3:0x40
	v_and_b32_e32 v8, s2, v8
	s_delay_alu instid0(VALU_DEP_1) | instskip(NEXT) | instid1(VALU_DEP_1)
	v_mul_u64_e32 v[8:9], 24, v[8:9]
	v_add_nc_u64_e32 v[12:13], v[12:13], v[8:9]
	global_store_b64 v[12:13], v[16:17], off
	global_wb scope:SCOPE_SYS
	s_wait_storecnt 0x0
	s_wait_xcnt 0x0
	global_atomic_cmpswap_b64 v[10:11], v3, v[14:17], s[4:5] offset:32 th:TH_ATOMIC_RETURN scope:SCOPE_SYS
	s_wait_loadcnt 0x0
	v_cmpx_ne_u64_e64 v[10:11], v[16:17]
	s_cbranch_execz .LBB0_412
; %bb.410:
	s_mov_b32 s11, 0
.LBB0_411:                              ; =>This Inner Loop Header: Depth=1
	v_dual_mov_b32 v8, s2 :: v_dual_mov_b32 v9, s3
	s_sleep 1
	global_store_b64 v[12:13], v[10:11], off
	global_wb scope:SCOPE_SYS
	s_wait_storecnt 0x0
	s_wait_xcnt 0x0
	global_atomic_cmpswap_b64 v[8:9], v3, v[8:11], s[4:5] offset:32 th:TH_ATOMIC_RETURN scope:SCOPE_SYS
	s_wait_loadcnt 0x0
	v_cmp_eq_u64_e32 vcc_lo, v[8:9], v[10:11]
	v_mov_b64_e32 v[10:11], v[8:9]
	s_or_b32 s11, vcc_lo, s11
	s_delay_alu instid0(SALU_CYCLE_1)
	s_and_not1_b32 exec_lo, exec_lo, s11
	s_cbranch_execnz .LBB0_411
.LBB0_412:
	s_or_b32 exec_lo, exec_lo, s10
	v_mov_b32_e32 v11, 0
	s_mov_b32 s11, exec_lo
	s_mov_b32 s10, exec_lo
	v_mbcnt_lo_u32_b32 v3, s11, 0
	global_load_b64 v[8:9], v11, s[4:5] offset:16
	s_wait_xcnt 0x0
	v_cmpx_eq_u32_e32 0, v3
	s_cbranch_execz .LBB0_414
; %bb.413:
	s_bcnt1_i32_b32 s11, s11
	s_delay_alu instid0(SALU_CYCLE_1)
	v_mov_b32_e32 v10, s11
	global_wb scope:SCOPE_SYS
	s_wait_loadcnt 0x0
	s_wait_storecnt 0x0
	global_atomic_add_u64 v[8:9], v[10:11], off offset:8 scope:SCOPE_SYS
.LBB0_414:
	s_wait_xcnt 0x0
	s_or_b32 exec_lo, exec_lo, s10
	s_wait_loadcnt 0x0
	global_load_b64 v[10:11], v[8:9], off offset:16
	s_wait_loadcnt 0x0
	v_cmp_eq_u64_e32 vcc_lo, 0, v[10:11]
	s_cbranch_vccnz .LBB0_416
; %bb.415:
	global_load_b32 v8, v[8:9], off offset:24
	s_wait_xcnt 0x0
	v_mov_b32_e32 v9, 0
	s_wait_loadcnt 0x0
	v_readfirstlane_b32 s10, v8
	global_wb scope:SCOPE_SYS
	s_wait_storecnt 0x0
	global_store_b64 v[10:11], v[8:9], off scope:SCOPE_SYS
	s_and_b32 m0, s10, 0xffffff
	s_sendmsg sendmsg(MSG_INTERRUPT)
.LBB0_416:
	s_wait_xcnt 0x0
	s_or_b32 exec_lo, exec_lo, s1
	v_add_nc_u64_e32 v[4:5], v[4:5], v[34:35]
	s_branch .LBB0_420
.LBB0_417:                              ;   in Loop: Header=BB0_420 Depth=1
	s_wait_xcnt 0x0
	s_or_b32 exec_lo, exec_lo, s1
	s_delay_alu instid0(VALU_DEP_1)
	v_readfirstlane_b32 s1, v3
	s_cmp_eq_u32 s1, 0
	s_cbranch_scc1 .LBB0_419
; %bb.418:                              ;   in Loop: Header=BB0_420 Depth=1
	s_sleep 1
	s_cbranch_execnz .LBB0_420
	s_branch .LBB0_422
.LBB0_419:
	s_branch .LBB0_422
.LBB0_420:                              ; =>This Inner Loop Header: Depth=1
	v_mov_b32_e32 v3, 1
	s_and_saveexec_b32 s1, s0
	s_cbranch_execz .LBB0_417
; %bb.421:                              ;   in Loop: Header=BB0_420 Depth=1
	global_load_b32 v3, v[0:1], off offset:20 scope:SCOPE_SYS
	s_wait_loadcnt 0x0
	global_inv scope:SCOPE_SYS
	v_and_b32_e32 v3, 1, v3
	s_branch .LBB0_417
.LBB0_422:
	global_load_b64 v[4:5], v[4:5], off
	s_wait_xcnt 0x0
	s_and_saveexec_b32 s10, s0
	s_cbranch_execz .LBB0_426
; %bb.423:
	v_mov_b32_e32 v3, 0
	s_clause 0x2
	global_load_b64 v[0:1], v3, s[4:5] offset:40
	global_load_b64 v[12:13], v3, s[4:5] offset:24 scope:SCOPE_SYS
	global_load_b64 v[8:9], v3, s[4:5]
	s_wait_loadcnt 0x2
	v_readfirstlane_b32 s12, v0
	v_readfirstlane_b32 s13, v1
	s_add_nc_u64 s[0:1], s[12:13], 1
	s_delay_alu instid0(SALU_CYCLE_1) | instskip(NEXT) | instid1(SALU_CYCLE_1)
	s_add_nc_u64 s[2:3], s[0:1], s[2:3]
	s_cmp_eq_u64 s[2:3], 0
	s_cselect_b32 s1, s1, s3
	s_cselect_b32 s0, s0, s2
	v_mov_b32_e32 v11, s1
	s_and_b64 s[2:3], s[0:1], s[12:13]
	v_mov_b32_e32 v10, s0
	s_mul_u64 s[2:3], s[2:3], 24
	s_wait_loadcnt 0x0
	v_add_nc_u64_e32 v[0:1], s[2:3], v[8:9]
	global_store_b64 v[0:1], v[12:13], off
	global_wb scope:SCOPE_SYS
	s_wait_storecnt 0x0
	s_wait_xcnt 0x0
	global_atomic_cmpswap_b64 v[10:11], v3, v[10:13], s[4:5] offset:24 th:TH_ATOMIC_RETURN scope:SCOPE_SYS
	s_wait_loadcnt 0x0
	v_cmp_ne_u64_e32 vcc_lo, v[10:11], v[12:13]
	s_and_b32 exec_lo, exec_lo, vcc_lo
	s_cbranch_execz .LBB0_426
; %bb.424:
	s_mov_b32 s2, 0
.LBB0_425:                              ; =>This Inner Loop Header: Depth=1
	v_dual_mov_b32 v8, s0 :: v_dual_mov_b32 v9, s1
	s_sleep 1
	global_store_b64 v[0:1], v[10:11], off
	global_wb scope:SCOPE_SYS
	s_wait_storecnt 0x0
	s_wait_xcnt 0x0
	global_atomic_cmpswap_b64 v[8:9], v3, v[8:11], s[4:5] offset:24 th:TH_ATOMIC_RETURN scope:SCOPE_SYS
	s_wait_loadcnt 0x0
	v_cmp_eq_u64_e32 vcc_lo, v[8:9], v[10:11]
	v_mov_b64_e32 v[10:11], v[8:9]
	s_or_b32 s2, vcc_lo, s2
	s_delay_alu instid0(SALU_CYCLE_1)
	s_and_not1_b32 exec_lo, exec_lo, s2
	s_cbranch_execnz .LBB0_425
.LBB0_426:
	s_or_b32 exec_lo, exec_lo, s10
	v_readfirstlane_b32 s0, v38
	v_mov_b64_e32 v[0:1], 0
	s_delay_alu instid0(VALU_DEP_2)
	v_cmp_eq_u32_e64 s0, s0, v38
	s_and_saveexec_b32 s1, s0
	s_cbranch_execz .LBB0_432
; %bb.427:
	v_mov_b32_e32 v3, 0
	s_mov_b32 s2, exec_lo
	global_load_b64 v[10:11], v3, s[4:5] offset:24 scope:SCOPE_SYS
	s_wait_loadcnt 0x0
	global_inv scope:SCOPE_SYS
	s_clause 0x1
	global_load_b64 v[0:1], v3, s[4:5] offset:40
	global_load_b64 v[8:9], v3, s[4:5]
	s_wait_loadcnt 0x1
	v_and_b32_e32 v0, v0, v10
	v_and_b32_e32 v1, v1, v11
	s_delay_alu instid0(VALU_DEP_1) | instskip(SKIP_1) | instid1(VALU_DEP_1)
	v_mul_u64_e32 v[0:1], 24, v[0:1]
	s_wait_loadcnt 0x0
	v_add_nc_u64_e32 v[0:1], v[8:9], v[0:1]
	global_load_b64 v[8:9], v[0:1], off scope:SCOPE_SYS
	s_wait_xcnt 0x0
	s_wait_loadcnt 0x0
	global_atomic_cmpswap_b64 v[0:1], v3, v[8:11], s[4:5] offset:24 th:TH_ATOMIC_RETURN scope:SCOPE_SYS
	s_wait_loadcnt 0x0
	global_inv scope:SCOPE_SYS
	s_wait_xcnt 0x0
	v_cmpx_ne_u64_e64 v[0:1], v[10:11]
	s_cbranch_execz .LBB0_431
; %bb.428:
	s_mov_b32 s3, 0
.LBB0_429:                              ; =>This Inner Loop Header: Depth=1
	s_sleep 1
	s_clause 0x1
	global_load_b64 v[8:9], v3, s[4:5] offset:40
	global_load_b64 v[12:13], v3, s[4:5]
	v_mov_b64_e32 v[10:11], v[0:1]
	s_wait_loadcnt 0x1
	s_delay_alu instid0(VALU_DEP_1) | instskip(NEXT) | instid1(VALU_DEP_2)
	v_and_b32_e32 v0, v8, v10
	v_and_b32_e32 v7, v9, v11
	s_wait_loadcnt 0x0
	s_delay_alu instid0(VALU_DEP_2) | instskip(NEXT) | instid1(VALU_DEP_1)
	v_mad_nc_u64_u32 v[0:1], v0, 24, v[12:13]
	v_mad_u32 v1, v7, 24, v1
	global_load_b64 v[8:9], v[0:1], off scope:SCOPE_SYS
	s_wait_xcnt 0x0
	s_wait_loadcnt 0x0
	global_atomic_cmpswap_b64 v[0:1], v3, v[8:11], s[4:5] offset:24 th:TH_ATOMIC_RETURN scope:SCOPE_SYS
	s_wait_loadcnt 0x0
	global_inv scope:SCOPE_SYS
	v_cmp_eq_u64_e32 vcc_lo, v[0:1], v[10:11]
	s_or_b32 s3, vcc_lo, s3
	s_wait_xcnt 0x0
	s_and_not1_b32 exec_lo, exec_lo, s3
	s_cbranch_execnz .LBB0_429
; %bb.430:
	s_or_b32 exec_lo, exec_lo, s3
.LBB0_431:
	s_delay_alu instid0(SALU_CYCLE_1)
	s_or_b32 exec_lo, exec_lo, s2
.LBB0_432:
	s_delay_alu instid0(SALU_CYCLE_1)
	s_or_b32 exec_lo, exec_lo, s1
	v_readfirstlane_b32 s2, v0
	v_mov_b32_e32 v35, 0
	v_readfirstlane_b32 s3, v1
	s_mov_b32 s1, exec_lo
	s_clause 0x1
	global_load_b64 v[12:13], v35, s[4:5] offset:40
	global_load_b128 v[8:11], v35, s[4:5]
	s_wait_loadcnt 0x1
	v_and_b32_e32 v12, s2, v12
	v_and_b32_e32 v13, s3, v13
	s_delay_alu instid0(VALU_DEP_1) | instskip(SKIP_1) | instid1(VALU_DEP_1)
	v_mul_u64_e32 v[0:1], 24, v[12:13]
	s_wait_loadcnt 0x0
	v_add_nc_u64_e32 v[0:1], v[8:9], v[0:1]
	s_wait_xcnt 0x0
	s_and_saveexec_b32 s10, s0
	s_cbranch_execz .LBB0_434
; %bb.433:
	v_mov_b64_e32 v[16:17], 0x100000002
	v_dual_mov_b32 v14, s1 :: v_dual_mov_b32 v15, v35
	global_store_b128 v[0:1], v[14:17], off offset:8
.LBB0_434:
	s_wait_xcnt 0x0
	s_or_b32 exec_lo, exec_lo, s10
	v_lshlrev_b64_e32 v[12:13], 12, v[12:13]
	s_mov_b32 s12, 0
	v_and_or_b32 v4, 0xffffff1f, v4, 32
	s_mov_b32 s13, s12
	s_mov_b32 s14, s12
	;; [unrolled: 1-line block ×3, first 2 shown]
	v_mov_b32_e32 v7, v35
	v_add_nc_u64_e32 v[10:11], v[10:11], v[12:13]
	v_mov_b64_e32 v[12:13], s[12:13]
	v_mov_b64_e32 v[14:15], s[14:15]
	s_delay_alu instid0(VALU_DEP_3) | instskip(NEXT) | instid1(VALU_DEP_4)
	v_readfirstlane_b32 s10, v10
	v_readfirstlane_b32 s11, v11
	s_wait_dscnt 0x0
	s_clause 0x3
	global_store_b128 v34, v[4:7], s[10:11]
	global_store_b128 v34, v[12:15], s[10:11] offset:16
	global_store_b128 v34, v[12:15], s[10:11] offset:32
	;; [unrolled: 1-line block ×3, first 2 shown]
	s_wait_xcnt 0x0
	s_and_saveexec_b32 s1, s0
	s_cbranch_execz .LBB0_442
; %bb.435:
	v_dual_mov_b32 v3, 0 :: v_dual_mov_b32 v13, s3
	s_mov_b32 s10, exec_lo
	s_clause 0x1
	global_load_b64 v[14:15], v3, s[4:5] offset:32 scope:SCOPE_SYS
	global_load_b64 v[4:5], v3, s[4:5] offset:40
	s_wait_loadcnt 0x0
	v_dual_mov_b32 v12, s2 :: v_dual_bitop2_b32 v5, s3, v5 bitop3:0x40
	v_and_b32_e32 v4, s2, v4
	s_delay_alu instid0(VALU_DEP_1) | instskip(NEXT) | instid1(VALU_DEP_1)
	v_mul_u64_e32 v[4:5], 24, v[4:5]
	v_add_nc_u64_e32 v[8:9], v[8:9], v[4:5]
	global_store_b64 v[8:9], v[14:15], off
	global_wb scope:SCOPE_SYS
	s_wait_storecnt 0x0
	s_wait_xcnt 0x0
	global_atomic_cmpswap_b64 v[6:7], v3, v[12:15], s[4:5] offset:32 th:TH_ATOMIC_RETURN scope:SCOPE_SYS
	s_wait_loadcnt 0x0
	v_cmpx_ne_u64_e64 v[6:7], v[14:15]
	s_cbranch_execz .LBB0_438
; %bb.436:
	s_mov_b32 s11, 0
.LBB0_437:                              ; =>This Inner Loop Header: Depth=1
	v_dual_mov_b32 v4, s2 :: v_dual_mov_b32 v5, s3
	s_sleep 1
	global_store_b64 v[8:9], v[6:7], off
	global_wb scope:SCOPE_SYS
	s_wait_storecnt 0x0
	s_wait_xcnt 0x0
	global_atomic_cmpswap_b64 v[4:5], v3, v[4:7], s[4:5] offset:32 th:TH_ATOMIC_RETURN scope:SCOPE_SYS
	s_wait_loadcnt 0x0
	v_cmp_eq_u64_e32 vcc_lo, v[4:5], v[6:7]
	v_mov_b64_e32 v[6:7], v[4:5]
	s_or_b32 s11, vcc_lo, s11
	s_delay_alu instid0(SALU_CYCLE_1)
	s_and_not1_b32 exec_lo, exec_lo, s11
	s_cbranch_execnz .LBB0_437
.LBB0_438:
	s_or_b32 exec_lo, exec_lo, s10
	v_mov_b32_e32 v7, 0
	s_mov_b32 s11, exec_lo
	s_mov_b32 s10, exec_lo
	v_mbcnt_lo_u32_b32 v3, s11, 0
	global_load_b64 v[4:5], v7, s[4:5] offset:16
	s_wait_xcnt 0x0
	v_cmpx_eq_u32_e32 0, v3
	s_cbranch_execz .LBB0_440
; %bb.439:
	s_bcnt1_i32_b32 s11, s11
	s_delay_alu instid0(SALU_CYCLE_1)
	v_mov_b32_e32 v6, s11
	global_wb scope:SCOPE_SYS
	s_wait_loadcnt 0x0
	s_wait_storecnt 0x0
	global_atomic_add_u64 v[4:5], v[6:7], off offset:8 scope:SCOPE_SYS
.LBB0_440:
	s_wait_xcnt 0x0
	s_or_b32 exec_lo, exec_lo, s10
	s_wait_loadcnt 0x0
	global_load_b64 v[6:7], v[4:5], off offset:16
	s_wait_loadcnt 0x0
	v_cmp_eq_u64_e32 vcc_lo, 0, v[6:7]
	s_cbranch_vccnz .LBB0_442
; %bb.441:
	global_load_b32 v4, v[4:5], off offset:24
	s_wait_xcnt 0x0
	v_mov_b32_e32 v5, 0
	s_wait_loadcnt 0x0
	v_readfirstlane_b32 s10, v4
	global_wb scope:SCOPE_SYS
	s_wait_storecnt 0x0
	global_store_b64 v[6:7], v[4:5], off scope:SCOPE_SYS
	s_and_b32 m0, s10, 0xffffff
	s_sendmsg sendmsg(MSG_INTERRUPT)
.LBB0_442:
	s_wait_xcnt 0x0
	s_or_b32 exec_lo, exec_lo, s1
	v_add_nc_u64_e32 v[4:5], v[10:11], v[34:35]
	s_branch .LBB0_446
.LBB0_443:                              ;   in Loop: Header=BB0_446 Depth=1
	s_wait_xcnt 0x0
	s_or_b32 exec_lo, exec_lo, s1
	s_delay_alu instid0(VALU_DEP_1)
	v_readfirstlane_b32 s1, v3
	s_cmp_eq_u32 s1, 0
	s_cbranch_scc1 .LBB0_445
; %bb.444:                              ;   in Loop: Header=BB0_446 Depth=1
	s_sleep 1
	s_cbranch_execnz .LBB0_446
	s_branch .LBB0_448
.LBB0_445:
	s_branch .LBB0_448
.LBB0_446:                              ; =>This Inner Loop Header: Depth=1
	v_mov_b32_e32 v3, 1
	s_and_saveexec_b32 s1, s0
	s_cbranch_execz .LBB0_443
; %bb.447:                              ;   in Loop: Header=BB0_446 Depth=1
	global_load_b32 v3, v[0:1], off offset:20 scope:SCOPE_SYS
	s_wait_loadcnt 0x0
	global_inv scope:SCOPE_SYS
	v_and_b32_e32 v3, 1, v3
	s_branch .LBB0_443
.LBB0_448:
	global_load_b64 v[0:1], v[4:5], off
	s_wait_xcnt 0x0
	s_and_saveexec_b32 s10, s0
	s_cbranch_execz .LBB0_452
; %bb.449:
	v_mov_b32_e32 v3, 0
	s_clause 0x2
	global_load_b64 v[4:5], v3, s[4:5] offset:40
	global_load_b64 v[12:13], v3, s[4:5] offset:24 scope:SCOPE_SYS
	global_load_b64 v[6:7], v3, s[4:5]
	s_wait_loadcnt 0x2
	v_readfirstlane_b32 s12, v4
	v_readfirstlane_b32 s13, v5
	s_add_nc_u64 s[0:1], s[12:13], 1
	s_delay_alu instid0(SALU_CYCLE_1) | instskip(NEXT) | instid1(SALU_CYCLE_1)
	s_add_nc_u64 s[2:3], s[0:1], s[2:3]
	s_cmp_eq_u64 s[2:3], 0
	s_cselect_b32 s1, s1, s3
	s_cselect_b32 s0, s0, s2
	v_mov_b32_e32 v11, s1
	s_and_b64 s[2:3], s[0:1], s[12:13]
	v_mov_b32_e32 v10, s0
	s_mul_u64 s[2:3], s[2:3], 24
	s_wait_loadcnt 0x0
	v_add_nc_u64_e32 v[8:9], s[2:3], v[6:7]
	global_store_b64 v[8:9], v[12:13], off
	global_wb scope:SCOPE_SYS
	s_wait_storecnt 0x0
	s_wait_xcnt 0x0
	global_atomic_cmpswap_b64 v[6:7], v3, v[10:13], s[4:5] offset:24 th:TH_ATOMIC_RETURN scope:SCOPE_SYS
	s_wait_loadcnt 0x0
	v_cmp_ne_u64_e32 vcc_lo, v[6:7], v[12:13]
	s_and_b32 exec_lo, exec_lo, vcc_lo
	s_cbranch_execz .LBB0_452
; %bb.450:
	s_mov_b32 s2, 0
.LBB0_451:                              ; =>This Inner Loop Header: Depth=1
	v_dual_mov_b32 v4, s0 :: v_dual_mov_b32 v5, s1
	s_sleep 1
	global_store_b64 v[8:9], v[6:7], off
	global_wb scope:SCOPE_SYS
	s_wait_storecnt 0x0
	s_wait_xcnt 0x0
	global_atomic_cmpswap_b64 v[4:5], v3, v[4:7], s[4:5] offset:24 th:TH_ATOMIC_RETURN scope:SCOPE_SYS
	s_wait_loadcnt 0x0
	v_cmp_eq_u64_e32 vcc_lo, v[4:5], v[6:7]
	v_mov_b64_e32 v[6:7], v[4:5]
	s_or_b32 s2, vcc_lo, s2
	s_delay_alu instid0(SALU_CYCLE_1)
	s_and_not1_b32 exec_lo, exec_lo, s2
	s_cbranch_execnz .LBB0_451
.LBB0_452:
	s_or_b32 exec_lo, exec_lo, s10
	v_readfirstlane_b32 s0, v38
	v_mov_b64_e32 v[8:9], 0
	s_delay_alu instid0(VALU_DEP_2)
	v_cmp_eq_u32_e64 s0, s0, v38
	s_and_saveexec_b32 s1, s0
	s_cbranch_execz .LBB0_458
; %bb.453:
	v_mov_b32_e32 v3, 0
	s_mov_b32 s2, exec_lo
	global_load_b64 v[6:7], v3, s[4:5] offset:24 scope:SCOPE_SYS
	s_wait_loadcnt 0x0
	global_inv scope:SCOPE_SYS
	s_clause 0x1
	global_load_b64 v[4:5], v3, s[4:5] offset:40
	global_load_b64 v[8:9], v3, s[4:5]
	s_wait_loadcnt 0x1
	v_and_b32_e32 v4, v4, v6
	v_and_b32_e32 v5, v5, v7
	s_delay_alu instid0(VALU_DEP_1) | instskip(SKIP_1) | instid1(VALU_DEP_1)
	v_mul_u64_e32 v[4:5], 24, v[4:5]
	s_wait_loadcnt 0x0
	v_add_nc_u64_e32 v[4:5], v[8:9], v[4:5]
	global_load_b64 v[4:5], v[4:5], off scope:SCOPE_SYS
	s_wait_xcnt 0x0
	s_wait_loadcnt 0x0
	global_atomic_cmpswap_b64 v[8:9], v3, v[4:7], s[4:5] offset:24 th:TH_ATOMIC_RETURN scope:SCOPE_SYS
	s_wait_loadcnt 0x0
	global_inv scope:SCOPE_SYS
	s_wait_xcnt 0x0
	v_cmpx_ne_u64_e64 v[8:9], v[6:7]
	s_cbranch_execz .LBB0_457
; %bb.454:
	s_mov_b32 s3, 0
.LBB0_455:                              ; =>This Inner Loop Header: Depth=1
	s_sleep 1
	s_clause 0x1
	global_load_b64 v[4:5], v3, s[4:5] offset:40
	global_load_b64 v[10:11], v3, s[4:5]
	v_mov_b64_e32 v[6:7], v[8:9]
	s_wait_loadcnt 0x1
	s_delay_alu instid0(VALU_DEP_1) | instskip(SKIP_1) | instid1(VALU_DEP_1)
	v_and_b32_e32 v4, v4, v6
	s_wait_loadcnt 0x0
	v_mad_nc_u64_u32 v[8:9], v4, 24, v[10:11]
	s_delay_alu instid0(VALU_DEP_3) | instskip(NEXT) | instid1(VALU_DEP_1)
	v_and_b32_e32 v4, v5, v7
	v_mad_u32 v9, v4, 24, v9
	global_load_b64 v[4:5], v[8:9], off scope:SCOPE_SYS
	s_wait_xcnt 0x0
	s_wait_loadcnt 0x0
	global_atomic_cmpswap_b64 v[8:9], v3, v[4:7], s[4:5] offset:24 th:TH_ATOMIC_RETURN scope:SCOPE_SYS
	s_wait_loadcnt 0x0
	global_inv scope:SCOPE_SYS
	v_cmp_eq_u64_e32 vcc_lo, v[8:9], v[6:7]
	s_or_b32 s3, vcc_lo, s3
	s_wait_xcnt 0x0
	s_and_not1_b32 exec_lo, exec_lo, s3
	s_cbranch_execnz .LBB0_455
; %bb.456:
	s_or_b32 exec_lo, exec_lo, s3
.LBB0_457:
	s_delay_alu instid0(SALU_CYCLE_1)
	s_or_b32 exec_lo, exec_lo, s2
.LBB0_458:
	s_delay_alu instid0(SALU_CYCLE_1)
	s_or_b32 exec_lo, exec_lo, s1
	v_readfirstlane_b32 s2, v8
	v_mov_b32_e32 v3, 0
	v_readfirstlane_b32 s3, v9
	s_mov_b32 s1, exec_lo
	s_clause 0x1
	global_load_b64 v[10:11], v3, s[4:5] offset:40
	global_load_b128 v[4:7], v3, s[4:5]
	s_wait_loadcnt 0x1
	v_and_b32_e32 v10, s2, v10
	v_and_b32_e32 v11, s3, v11
	s_delay_alu instid0(VALU_DEP_1) | instskip(SKIP_1) | instid1(VALU_DEP_1)
	v_mul_u64_e32 v[8:9], 24, v[10:11]
	s_wait_loadcnt 0x0
	v_add_nc_u64_e32 v[8:9], v[4:5], v[8:9]
	s_wait_xcnt 0x0
	s_and_saveexec_b32 s10, s0
	s_cbranch_execz .LBB0_460
; %bb.459:
	v_mov_b64_e32 v[14:15], 0x100000002
	v_dual_mov_b32 v12, s1 :: v_dual_mov_b32 v13, v3
	global_store_b128 v[8:9], v[12:15], off offset:8
.LBB0_460:
	s_wait_xcnt 0x0
	s_or_b32 exec_lo, exec_lo, s10
	v_lshlrev_b64_e32 v[10:11], 12, v[10:11]
	s_mov_b32 s12, 0
	v_and_or_b32 v0, 0xffffff1d, v0, 34
	s_mov_b32 s13, s12
	s_mov_b32 s14, s12
	s_mov_b32 s15, s12
	s_delay_alu instid0(VALU_DEP_2) | instskip(SKIP_2) | instid1(VALU_DEP_3)
	v_add_nc_u64_e32 v[6:7], v[6:7], v[10:11]
	v_mov_b64_e32 v[10:11], s[12:13]
	v_mov_b64_e32 v[12:13], s[14:15]
	v_readfirstlane_b32 s10, v6
	s_delay_alu instid0(VALU_DEP_4)
	v_readfirstlane_b32 s11, v7
	s_clause 0x3
	global_store_b128 v34, v[0:3], s[10:11]
	global_store_b128 v34, v[10:13], s[10:11] offset:16
	global_store_b128 v34, v[10:13], s[10:11] offset:32
	;; [unrolled: 1-line block ×3, first 2 shown]
	s_wait_xcnt 0x0
	s_and_saveexec_b32 s1, s0
	s_cbranch_execz .LBB0_468
; %bb.461:
	v_dual_mov_b32 v6, 0 :: v_dual_mov_b32 v11, s3
	s_mov_b32 s10, exec_lo
	s_clause 0x1
	global_load_b64 v[12:13], v6, s[4:5] offset:32 scope:SCOPE_SYS
	global_load_b64 v[0:1], v6, s[4:5] offset:40
	s_wait_loadcnt 0x0
	v_dual_mov_b32 v10, s2 :: v_dual_bitop2_b32 v1, s3, v1 bitop3:0x40
	v_and_b32_e32 v0, s2, v0
	s_delay_alu instid0(VALU_DEP_1) | instskip(NEXT) | instid1(VALU_DEP_1)
	v_mul_u64_e32 v[0:1], 24, v[0:1]
	v_add_nc_u64_e32 v[4:5], v[4:5], v[0:1]
	global_store_b64 v[4:5], v[12:13], off
	global_wb scope:SCOPE_SYS
	s_wait_storecnt 0x0
	s_wait_xcnt 0x0
	global_atomic_cmpswap_b64 v[2:3], v6, v[10:13], s[4:5] offset:32 th:TH_ATOMIC_RETURN scope:SCOPE_SYS
	s_wait_loadcnt 0x0
	v_cmpx_ne_u64_e64 v[2:3], v[12:13]
	s_cbranch_execz .LBB0_464
; %bb.462:
	s_mov_b32 s11, 0
.LBB0_463:                              ; =>This Inner Loop Header: Depth=1
	v_dual_mov_b32 v0, s2 :: v_dual_mov_b32 v1, s3
	s_sleep 1
	global_store_b64 v[4:5], v[2:3], off
	global_wb scope:SCOPE_SYS
	s_wait_storecnt 0x0
	s_wait_xcnt 0x0
	global_atomic_cmpswap_b64 v[0:1], v6, v[0:3], s[4:5] offset:32 th:TH_ATOMIC_RETURN scope:SCOPE_SYS
	s_wait_loadcnt 0x0
	v_cmp_eq_u64_e32 vcc_lo, v[0:1], v[2:3]
	v_mov_b64_e32 v[2:3], v[0:1]
	s_or_b32 s11, vcc_lo, s11
	s_delay_alu instid0(SALU_CYCLE_1)
	s_and_not1_b32 exec_lo, exec_lo, s11
	s_cbranch_execnz .LBB0_463
.LBB0_464:
	s_or_b32 exec_lo, exec_lo, s10
	v_mov_b32_e32 v3, 0
	s_mov_b32 s11, exec_lo
	s_mov_b32 s10, exec_lo
	v_mbcnt_lo_u32_b32 v2, s11, 0
	global_load_b64 v[0:1], v3, s[4:5] offset:16
	s_wait_xcnt 0x0
	v_cmpx_eq_u32_e32 0, v2
	s_cbranch_execz .LBB0_466
; %bb.465:
	s_bcnt1_i32_b32 s11, s11
	s_delay_alu instid0(SALU_CYCLE_1)
	v_mov_b32_e32 v2, s11
	global_wb scope:SCOPE_SYS
	s_wait_loadcnt 0x0
	s_wait_storecnt 0x0
	global_atomic_add_u64 v[0:1], v[2:3], off offset:8 scope:SCOPE_SYS
.LBB0_466:
	s_wait_xcnt 0x0
	s_or_b32 exec_lo, exec_lo, s10
	s_wait_loadcnt 0x0
	global_load_b64 v[2:3], v[0:1], off offset:16
	s_wait_loadcnt 0x0
	v_cmp_eq_u64_e32 vcc_lo, 0, v[2:3]
	s_cbranch_vccnz .LBB0_468
; %bb.467:
	global_load_b32 v0, v[0:1], off offset:24
	s_wait_xcnt 0x0
	v_mov_b32_e32 v1, 0
	s_wait_loadcnt 0x0
	v_readfirstlane_b32 s10, v0
	global_wb scope:SCOPE_SYS
	s_wait_storecnt 0x0
	global_store_b64 v[2:3], v[0:1], off scope:SCOPE_SYS
	s_and_b32 m0, s10, 0xffffff
	s_sendmsg sendmsg(MSG_INTERRUPT)
.LBB0_468:
	s_wait_xcnt 0x0
	s_or_b32 exec_lo, exec_lo, s1
	s_branch .LBB0_472
.LBB0_469:                              ;   in Loop: Header=BB0_472 Depth=1
	s_wait_xcnt 0x0
	s_or_b32 exec_lo, exec_lo, s1
	s_delay_alu instid0(VALU_DEP_1)
	v_readfirstlane_b32 s1, v0
	s_cmp_eq_u32 s1, 0
	s_cbranch_scc1 .LBB0_471
; %bb.470:                              ;   in Loop: Header=BB0_472 Depth=1
	s_sleep 1
	s_cbranch_execnz .LBB0_472
	s_branch .LBB0_474
.LBB0_471:
	s_branch .LBB0_474
.LBB0_472:                              ; =>This Inner Loop Header: Depth=1
	v_mov_b32_e32 v0, 1
	s_and_saveexec_b32 s1, s0
	s_cbranch_execz .LBB0_469
; %bb.473:                              ;   in Loop: Header=BB0_472 Depth=1
	global_load_b32 v0, v[8:9], off offset:20 scope:SCOPE_SYS
	s_wait_loadcnt 0x0
	global_inv scope:SCOPE_SYS
	v_and_b32_e32 v0, 1, v0
	s_branch .LBB0_469
.LBB0_474:
	s_and_saveexec_b32 s10, s0
	s_cbranch_execz .LBB0_478
; %bb.475:
	v_mov_b32_e32 v6, 0
	s_clause 0x2
	global_load_b64 v[0:1], v6, s[4:5] offset:40
	global_load_b64 v[10:11], v6, s[4:5] offset:24 scope:SCOPE_SYS
	global_load_b64 v[2:3], v6, s[4:5]
	s_wait_loadcnt 0x2
	v_readfirstlane_b32 s12, v0
	v_readfirstlane_b32 s13, v1
	s_add_nc_u64 s[0:1], s[12:13], 1
	s_delay_alu instid0(SALU_CYCLE_1) | instskip(NEXT) | instid1(SALU_CYCLE_1)
	s_add_nc_u64 s[2:3], s[0:1], s[2:3]
	s_cmp_eq_u64 s[2:3], 0
	s_cselect_b32 s1, s1, s3
	s_cselect_b32 s0, s0, s2
	v_mov_b32_e32 v9, s1
	s_and_b64 s[2:3], s[0:1], s[12:13]
	v_mov_b32_e32 v8, s0
	s_mul_u64 s[2:3], s[2:3], 24
	s_wait_loadcnt 0x0
	v_add_nc_u64_e32 v[4:5], s[2:3], v[2:3]
	global_store_b64 v[4:5], v[10:11], off
	global_wb scope:SCOPE_SYS
	s_wait_storecnt 0x0
	s_wait_xcnt 0x0
	global_atomic_cmpswap_b64 v[2:3], v6, v[8:11], s[4:5] offset:24 th:TH_ATOMIC_RETURN scope:SCOPE_SYS
	s_wait_loadcnt 0x0
	v_cmp_ne_u64_e32 vcc_lo, v[2:3], v[10:11]
	s_and_b32 exec_lo, exec_lo, vcc_lo
	s_cbranch_execz .LBB0_478
; %bb.476:
	s_mov_b32 s2, 0
.LBB0_477:                              ; =>This Inner Loop Header: Depth=1
	v_dual_mov_b32 v0, s0 :: v_dual_mov_b32 v1, s1
	s_sleep 1
	global_store_b64 v[4:5], v[2:3], off
	global_wb scope:SCOPE_SYS
	s_wait_storecnt 0x0
	s_wait_xcnt 0x0
	global_atomic_cmpswap_b64 v[0:1], v6, v[0:3], s[4:5] offset:24 th:TH_ATOMIC_RETURN scope:SCOPE_SYS
	s_wait_loadcnt 0x0
	v_cmp_eq_u64_e32 vcc_lo, v[0:1], v[2:3]
	v_mov_b64_e32 v[2:3], v[0:1]
	s_or_b32 s2, vcc_lo, s2
	s_delay_alu instid0(SALU_CYCLE_1)
	s_and_not1_b32 exec_lo, exec_lo, s2
	s_cbranch_execnz .LBB0_477
.LBB0_478:
	s_or_b32 exec_lo, exec_lo, s10
	v_mov_b32_e32 v3, 0
	v_readfirstlane_b32 s0, v38
	flat_load_b32 v0, v3, s[6:7] scope:SCOPE_SYS
	s_wait_loadcnt 0x0
	v_cmp_eq_u32_e64 s0, s0, v38
	s_wait_dscnt 0x0
	v_add_nc_u32_e32 v0, -1, v0
	flat_store_b32 v3, v0, s[6:7] scope:SCOPE_SYS
	s_wait_storecnt 0x0
	flat_load_b32 v6, v3, s[6:7] scope:SCOPE_SYS
	s_wait_loadcnt 0x0
	global_load_b32 v2, v3, s[8:9]
	s_wait_xcnt 0x2
	v_mov_b64_e32 v[0:1], 0
	s_wait_xcnt 0x0
	s_and_saveexec_b32 s1, s0
	s_cbranch_execz .LBB0_484
; %bb.479:
	global_load_b64 v[10:11], v3, s[4:5] offset:24 scope:SCOPE_SYS
	s_wait_loadcnt 0x0
	global_inv scope:SCOPE_SYS
	s_clause 0x1
	global_load_b64 v[0:1], v3, s[4:5] offset:40
	global_load_b64 v[4:5], v3, s[4:5]
	s_mov_b32 s2, exec_lo
	s_wait_loadcnt 0x1
	v_and_b32_e32 v0, v0, v10
	v_and_b32_e32 v1, v1, v11
	s_delay_alu instid0(VALU_DEP_1) | instskip(SKIP_1) | instid1(VALU_DEP_1)
	v_mul_u64_e32 v[0:1], 24, v[0:1]
	s_wait_loadcnt 0x0
	v_add_nc_u64_e32 v[0:1], v[4:5], v[0:1]
	global_load_b64 v[8:9], v[0:1], off scope:SCOPE_SYS
	s_wait_xcnt 0x0
	s_wait_loadcnt 0x0
	global_atomic_cmpswap_b64 v[0:1], v3, v[8:11], s[4:5] offset:24 th:TH_ATOMIC_RETURN scope:SCOPE_SYS
	s_wait_loadcnt 0x0
	global_inv scope:SCOPE_SYS
	s_wait_xcnt 0x0
	v_cmpx_ne_u64_e64 v[0:1], v[10:11]
	s_cbranch_execz .LBB0_483
; %bb.480:
	v_mov_b32_e32 v4, 0
	s_mov_b32 s3, 0
.LBB0_481:                              ; =>This Inner Loop Header: Depth=1
	s_sleep 1
	s_clause 0x1
	global_load_b64 v[8:9], v4, s[4:5] offset:40
	global_load_b64 v[12:13], v4, s[4:5]
	v_mov_b64_e32 v[10:11], v[0:1]
	s_wait_loadcnt 0x1
	s_delay_alu instid0(VALU_DEP_1) | instskip(NEXT) | instid1(VALU_DEP_2)
	v_and_b32_e32 v0, v8, v10
	v_and_b32_e32 v5, v9, v11
	s_wait_loadcnt 0x0
	s_delay_alu instid0(VALU_DEP_2) | instskip(NEXT) | instid1(VALU_DEP_1)
	v_mad_nc_u64_u32 v[0:1], v0, 24, v[12:13]
	v_mad_u32 v1, v5, 24, v1
	global_load_b64 v[8:9], v[0:1], off scope:SCOPE_SYS
	s_wait_xcnt 0x0
	s_wait_loadcnt 0x0
	global_atomic_cmpswap_b64 v[0:1], v4, v[8:11], s[4:5] offset:24 th:TH_ATOMIC_RETURN scope:SCOPE_SYS
	s_wait_loadcnt 0x0
	global_inv scope:SCOPE_SYS
	v_cmp_eq_u64_e32 vcc_lo, v[0:1], v[10:11]
	s_or_b32 s3, vcc_lo, s3
	s_wait_xcnt 0x0
	s_and_not1_b32 exec_lo, exec_lo, s3
	s_cbranch_execnz .LBB0_481
; %bb.482:
	s_or_b32 exec_lo, exec_lo, s3
.LBB0_483:
	s_delay_alu instid0(SALU_CYCLE_1)
	s_or_b32 exec_lo, exec_lo, s2
.LBB0_484:
	s_delay_alu instid0(SALU_CYCLE_1)
	s_or_b32 exec_lo, exec_lo, s1
	s_clause 0x1
	global_load_b64 v[4:5], v3, s[4:5] offset:40
	global_load_b128 v[8:11], v3, s[4:5]
	v_readfirstlane_b32 s2, v0
	v_readfirstlane_b32 s3, v1
	s_mov_b32 s1, exec_lo
	s_wait_loadcnt 0x1
	v_and_b32_e32 v4, s2, v4
	v_and_b32_e32 v5, s3, v5
	s_delay_alu instid0(VALU_DEP_1) | instskip(SKIP_1) | instid1(VALU_DEP_1)
	v_mul_u64_e32 v[0:1], 24, v[4:5]
	s_wait_loadcnt 0x0
	v_add_nc_u64_e32 v[0:1], v[8:9], v[0:1]
	s_and_saveexec_b32 s6, s0
	s_cbranch_execz .LBB0_486
; %bb.485:
	v_mov_b64_e32 v[14:15], 0x100000002
	v_dual_mov_b32 v12, s1 :: v_dual_mov_b32 v13, 0
	global_store_b128 v[0:1], v[12:15], off offset:8
.LBB0_486:
	s_wait_xcnt 0x0
	s_or_b32 exec_lo, exec_lo, s6
	v_lshlrev_b64_e32 v[4:5], 12, v[4:5]
	s_mov_b32 s8, 0
	v_dual_mov_b32 v35, 0 :: v_dual_mov_b32 v12, 33
	s_mov_b32 s10, s8
	s_mov_b32 s11, s8
	;; [unrolled: 1-line block ×3, first 2 shown]
	s_delay_alu instid0(VALU_DEP_2)
	v_add_nc_u64_e32 v[4:5], v[10:11], v[4:5]
	v_mov_b64_e32 v[18:19], s[10:11]
	v_mov_b64_e32 v[16:17], s[8:9]
	v_dual_mov_b32 v13, v35 :: v_dual_mov_b32 v14, v35
	v_mov_b32_e32 v15, v35
	v_readfirstlane_b32 s6, v4
	v_readfirstlane_b32 s7, v5
	s_clause 0x3
	global_store_b128 v34, v[12:15], s[6:7]
	global_store_b128 v34, v[16:19], s[6:7] offset:16
	global_store_b128 v34, v[16:19], s[6:7] offset:32
	;; [unrolled: 1-line block ×3, first 2 shown]
	s_wait_xcnt 0x0
	s_and_saveexec_b32 s1, s0
	s_cbranch_execz .LBB0_494
; %bb.487:
	s_clause 0x1
	global_load_b64 v[16:17], v35, s[4:5] offset:32 scope:SCOPE_SYS
	global_load_b64 v[10:11], v35, s[4:5] offset:40
	s_mov_b32 s6, exec_lo
	v_dual_mov_b32 v14, s2 :: v_dual_mov_b32 v15, s3
	s_wait_loadcnt 0x0
	v_and_b32_e32 v11, s3, v11
	v_and_b32_e32 v10, s2, v10
	s_delay_alu instid0(VALU_DEP_1) | instskip(NEXT) | instid1(VALU_DEP_1)
	v_mul_u64_e32 v[10:11], 24, v[10:11]
	v_add_nc_u64_e32 v[12:13], v[8:9], v[10:11]
	global_store_b64 v[12:13], v[16:17], off
	global_wb scope:SCOPE_SYS
	s_wait_storecnt 0x0
	s_wait_xcnt 0x0
	global_atomic_cmpswap_b64 v[10:11], v35, v[14:17], s[4:5] offset:32 th:TH_ATOMIC_RETURN scope:SCOPE_SYS
	s_wait_loadcnt 0x0
	v_cmpx_ne_u64_e64 v[10:11], v[16:17]
	s_cbranch_execz .LBB0_490
; %bb.488:
	v_mov_b32_e32 v3, 0
	s_mov_b32 s7, 0
.LBB0_489:                              ; =>This Inner Loop Header: Depth=1
	v_dual_mov_b32 v8, s2 :: v_dual_mov_b32 v9, s3
	s_sleep 1
	global_store_b64 v[12:13], v[10:11], off
	global_wb scope:SCOPE_SYS
	s_wait_storecnt 0x0
	s_wait_xcnt 0x0
	global_atomic_cmpswap_b64 v[8:9], v3, v[8:11], s[4:5] offset:32 th:TH_ATOMIC_RETURN scope:SCOPE_SYS
	s_wait_loadcnt 0x0
	v_cmp_eq_u64_e32 vcc_lo, v[8:9], v[10:11]
	v_mov_b64_e32 v[10:11], v[8:9]
	s_or_b32 s7, vcc_lo, s7
	s_delay_alu instid0(SALU_CYCLE_1)
	s_and_not1_b32 exec_lo, exec_lo, s7
	s_cbranch_execnz .LBB0_489
.LBB0_490:
	s_or_b32 exec_lo, exec_lo, s6
	v_mov_b32_e32 v11, 0
	s_mov_b32 s7, exec_lo
	s_mov_b32 s6, exec_lo
	v_mbcnt_lo_u32_b32 v3, s7, 0
	global_load_b64 v[8:9], v11, s[4:5] offset:16
	s_wait_xcnt 0x0
	v_cmpx_eq_u32_e32 0, v3
	s_cbranch_execz .LBB0_492
; %bb.491:
	s_bcnt1_i32_b32 s7, s7
	s_delay_alu instid0(SALU_CYCLE_1)
	v_mov_b32_e32 v10, s7
	global_wb scope:SCOPE_SYS
	s_wait_loadcnt 0x0
	s_wait_storecnt 0x0
	global_atomic_add_u64 v[8:9], v[10:11], off offset:8 scope:SCOPE_SYS
.LBB0_492:
	s_wait_xcnt 0x0
	s_or_b32 exec_lo, exec_lo, s6
	s_wait_loadcnt 0x0
	global_load_b64 v[10:11], v[8:9], off offset:16
	s_wait_loadcnt 0x0
	v_cmp_eq_u64_e32 vcc_lo, 0, v[10:11]
	s_cbranch_vccnz .LBB0_494
; %bb.493:
	global_load_b32 v8, v[8:9], off offset:24
	s_wait_xcnt 0x0
	v_mov_b32_e32 v9, 0
	s_wait_loadcnt 0x0
	v_readfirstlane_b32 s6, v8
	global_wb scope:SCOPE_SYS
	s_wait_storecnt 0x0
	global_store_b64 v[10:11], v[8:9], off scope:SCOPE_SYS
	s_and_b32 m0, s6, 0xffffff
	s_sendmsg sendmsg(MSG_INTERRUPT)
.LBB0_494:
	s_wait_xcnt 0x0
	s_or_b32 exec_lo, exec_lo, s1
	v_add_nc_u64_e32 v[4:5], v[4:5], v[34:35]
	s_branch .LBB0_498
.LBB0_495:                              ;   in Loop: Header=BB0_498 Depth=1
	s_wait_xcnt 0x0
	s_or_b32 exec_lo, exec_lo, s1
	s_delay_alu instid0(VALU_DEP_1)
	v_readfirstlane_b32 s1, v3
	s_cmp_eq_u32 s1, 0
	s_cbranch_scc1 .LBB0_497
; %bb.496:                              ;   in Loop: Header=BB0_498 Depth=1
	s_sleep 1
	s_cbranch_execnz .LBB0_498
	s_branch .LBB0_500
.LBB0_497:
	s_branch .LBB0_500
.LBB0_498:                              ; =>This Inner Loop Header: Depth=1
	v_mov_b32_e32 v3, 1
	s_and_saveexec_b32 s1, s0
	s_cbranch_execz .LBB0_495
; %bb.499:                              ;   in Loop: Header=BB0_498 Depth=1
	global_load_b32 v3, v[0:1], off offset:20 scope:SCOPE_SYS
	s_wait_loadcnt 0x0
	global_inv scope:SCOPE_SYS
	v_and_b32_e32 v3, 1, v3
	s_branch .LBB0_495
.LBB0_500:
	global_load_b64 v[8:9], v[4:5], off
	s_wait_xcnt 0x0
	s_and_saveexec_b32 s6, s0
	s_cbranch_execz .LBB0_504
; %bb.501:
	v_mov_b32_e32 v3, 0
	s_clause 0x2
	global_load_b64 v[0:1], v3, s[4:5] offset:40
	global_load_b64 v[14:15], v3, s[4:5] offset:24 scope:SCOPE_SYS
	global_load_b64 v[4:5], v3, s[4:5]
	s_wait_loadcnt 0x2
	v_readfirstlane_b32 s8, v0
	v_readfirstlane_b32 s9, v1
	s_add_nc_u64 s[0:1], s[8:9], 1
	s_delay_alu instid0(SALU_CYCLE_1) | instskip(NEXT) | instid1(SALU_CYCLE_1)
	s_add_nc_u64 s[2:3], s[0:1], s[2:3]
	s_cmp_eq_u64 s[2:3], 0
	s_cselect_b32 s1, s1, s3
	s_cselect_b32 s0, s0, s2
	v_mov_b32_e32 v13, s1
	s_and_b64 s[2:3], s[0:1], s[8:9]
	v_mov_b32_e32 v12, s0
	s_mul_u64 s[2:3], s[2:3], 24
	s_wait_loadcnt 0x0
	v_add_nc_u64_e32 v[0:1], s[2:3], v[4:5]
	global_store_b64 v[0:1], v[14:15], off
	global_wb scope:SCOPE_SYS
	s_wait_storecnt 0x0
	s_wait_xcnt 0x0
	global_atomic_cmpswap_b64 v[12:13], v3, v[12:15], s[4:5] offset:24 th:TH_ATOMIC_RETURN scope:SCOPE_SYS
	s_wait_loadcnt 0x0
	v_cmp_ne_u64_e32 vcc_lo, v[12:13], v[14:15]
	s_and_b32 exec_lo, exec_lo, vcc_lo
	s_cbranch_execz .LBB0_504
; %bb.502:
	s_mov_b32 s2, 0
.LBB0_503:                              ; =>This Inner Loop Header: Depth=1
	v_dual_mov_b32 v10, s0 :: v_dual_mov_b32 v11, s1
	s_sleep 1
	global_store_b64 v[0:1], v[12:13], off
	global_wb scope:SCOPE_SYS
	s_wait_storecnt 0x0
	s_wait_xcnt 0x0
	global_atomic_cmpswap_b64 v[4:5], v3, v[10:13], s[4:5] offset:24 th:TH_ATOMIC_RETURN scope:SCOPE_SYS
	s_wait_loadcnt 0x0
	v_cmp_eq_u64_e32 vcc_lo, v[4:5], v[12:13]
	v_mov_b64_e32 v[12:13], v[4:5]
	s_or_b32 s2, vcc_lo, s2
	s_delay_alu instid0(SALU_CYCLE_1)
	s_and_not1_b32 exec_lo, exec_lo, s2
	s_cbranch_execnz .LBB0_503
.LBB0_504:
	s_or_b32 exec_lo, exec_lo, s6
	s_get_pc_i64 s[2:3]
	s_add_nc_u64 s[2:3], s[2:3], .str.2@rel64+4
	s_delay_alu instid0(SALU_CYCLE_1)
	s_cmp_lg_u64 s[2:3], 0
	s_cbranch_scc0 .LBB0_583
; %bb.505:
	v_mov_b64_e32 v[16:17], 0x100000002
	s_wait_loadcnt 0x0
	v_dual_mov_b32 v15, 0 :: v_dual_bitop2_b32 v0, 2, v8 bitop3:0x40
	v_dual_mov_b32 v11, v9 :: v_dual_bitop2_b32 v10, -3, v8 bitop3:0x40
	s_mov_b64 s[6:7], 41
	s_branch .LBB0_507
.LBB0_506:                              ;   in Loop: Header=BB0_507 Depth=1
	s_or_b32 exec_lo, exec_lo, s12
	s_sub_nc_u64 s[6:7], s[6:7], s[8:9]
	s_add_nc_u64 s[2:3], s[2:3], s[8:9]
	s_cmp_lg_u64 s[6:7], 0
	s_cbranch_scc0 .LBB0_582
.LBB0_507:                              ; =>This Loop Header: Depth=1
                                        ;     Child Loop BB0_510 Depth 2
                                        ;     Child Loop BB0_517 Depth 2
	;; [unrolled: 1-line block ×11, first 2 shown]
	v_min_u64 v[4:5], s[6:7], 56
	v_cmp_gt_u64_e64 s0, s[6:7], 7
	s_and_b32 vcc_lo, exec_lo, s0
	v_readfirstlane_b32 s8, v4
	v_readfirstlane_b32 s9, v5
	s_cbranch_vccnz .LBB0_512
; %bb.508:                              ;   in Loop: Header=BB0_507 Depth=1
	v_mov_b64_e32 v[12:13], 0
	s_cmp_eq_u64 s[6:7], 0
	s_cbranch_scc1 .LBB0_511
; %bb.509:                              ;   in Loop: Header=BB0_507 Depth=1
	s_mov_b64 s[0:1], 0
	s_mov_b64 s[10:11], 0
.LBB0_510:                              ;   Parent Loop BB0_507 Depth=1
                                        ; =>  This Inner Loop Header: Depth=2
	s_wait_xcnt 0x0
	s_add_nc_u64 s[12:13], s[2:3], s[10:11]
	s_add_nc_u64 s[10:11], s[10:11], 1
	global_load_u8 v1, v15, s[12:13]
	s_cmp_lg_u32 s8, s10
	s_wait_loadcnt 0x0
	v_and_b32_e32 v14, 0xffff, v1
	s_delay_alu instid0(VALU_DEP_1) | instskip(SKIP_1) | instid1(VALU_DEP_1)
	v_lshlrev_b64_e32 v[4:5], s0, v[14:15]
	s_add_nc_u64 s[0:1], s[0:1], 8
	v_or_b32_e32 v12, v4, v12
	s_delay_alu instid0(VALU_DEP_2)
	v_or_b32_e32 v13, v5, v13
	s_cbranch_scc1 .LBB0_510
.LBB0_511:                              ;   in Loop: Header=BB0_507 Depth=1
	s_mov_b64 s[10:11], s[2:3]
	s_mov_b32 s14, 0
	s_cbranch_execz .LBB0_513
	s_branch .LBB0_514
.LBB0_512:                              ;   in Loop: Header=BB0_507 Depth=1
	s_add_nc_u64 s[10:11], s[2:3], 8
	s_mov_b32 s14, 0
.LBB0_513:                              ;   in Loop: Header=BB0_507 Depth=1
	global_load_b64 v[12:13], v15, s[2:3]
	s_add_co_i32 s14, s8, -8
.LBB0_514:                              ;   in Loop: Header=BB0_507 Depth=1
	s_delay_alu instid0(SALU_CYCLE_1)
	s_cmp_gt_u32 s14, 7
	s_cbranch_scc1 .LBB0_519
; %bb.515:                              ;   in Loop: Header=BB0_507 Depth=1
	v_mov_b64_e32 v[18:19], 0
	s_cmp_eq_u32 s14, 0
	s_cbranch_scc1 .LBB0_518
; %bb.516:                              ;   in Loop: Header=BB0_507 Depth=1
	s_mov_b64 s[0:1], 0
	s_wait_xcnt 0x0
	s_mov_b64 s[12:13], 0
.LBB0_517:                              ;   Parent Loop BB0_507 Depth=1
                                        ; =>  This Inner Loop Header: Depth=2
	s_wait_xcnt 0x0
	s_add_nc_u64 s[16:17], s[10:11], s[12:13]
	s_add_nc_u64 s[12:13], s[12:13], 1
	global_load_u8 v1, v15, s[16:17]
	s_cmp_lg_u32 s14, s12
	s_wait_loadcnt 0x0
	v_and_b32_e32 v14, 0xffff, v1
	s_delay_alu instid0(VALU_DEP_1) | instskip(SKIP_1) | instid1(VALU_DEP_1)
	v_lshlrev_b64_e32 v[4:5], s0, v[14:15]
	s_add_nc_u64 s[0:1], s[0:1], 8
	v_or_b32_e32 v18, v4, v18
	s_delay_alu instid0(VALU_DEP_2)
	v_or_b32_e32 v19, v5, v19
	s_cbranch_scc1 .LBB0_517
.LBB0_518:                              ;   in Loop: Header=BB0_507 Depth=1
	s_wait_xcnt 0x0
	s_mov_b64 s[0:1], s[10:11]
	s_mov_b32 s15, 0
	s_cbranch_execz .LBB0_520
	s_branch .LBB0_521
.LBB0_519:                              ;   in Loop: Header=BB0_507 Depth=1
	s_add_nc_u64 s[0:1], s[10:11], 8
	s_wait_xcnt 0x0
                                        ; implicit-def: $vgpr18_vgpr19
	s_mov_b32 s15, 0
.LBB0_520:                              ;   in Loop: Header=BB0_507 Depth=1
	global_load_b64 v[18:19], v15, s[10:11]
	s_add_co_i32 s15, s14, -8
.LBB0_521:                              ;   in Loop: Header=BB0_507 Depth=1
	s_delay_alu instid0(SALU_CYCLE_1)
	s_cmp_gt_u32 s15, 7
	s_cbranch_scc1 .LBB0_526
; %bb.522:                              ;   in Loop: Header=BB0_507 Depth=1
	v_mov_b64_e32 v[20:21], 0
	s_cmp_eq_u32 s15, 0
	s_cbranch_scc1 .LBB0_525
; %bb.523:                              ;   in Loop: Header=BB0_507 Depth=1
	s_wait_xcnt 0x0
	s_mov_b64 s[10:11], 0
	s_mov_b64 s[12:13], 0
.LBB0_524:                              ;   Parent Loop BB0_507 Depth=1
                                        ; =>  This Inner Loop Header: Depth=2
	s_wait_xcnt 0x0
	s_add_nc_u64 s[16:17], s[0:1], s[12:13]
	s_add_nc_u64 s[12:13], s[12:13], 1
	global_load_u8 v1, v15, s[16:17]
	s_cmp_lg_u32 s15, s12
	s_wait_loadcnt 0x0
	v_and_b32_e32 v14, 0xffff, v1
	s_delay_alu instid0(VALU_DEP_1) | instskip(SKIP_1) | instid1(VALU_DEP_1)
	v_lshlrev_b64_e32 v[4:5], s10, v[14:15]
	s_add_nc_u64 s[10:11], s[10:11], 8
	v_or_b32_e32 v20, v4, v20
	s_delay_alu instid0(VALU_DEP_2)
	v_or_b32_e32 v21, v5, v21
	s_cbranch_scc1 .LBB0_524
.LBB0_525:                              ;   in Loop: Header=BB0_507 Depth=1
	s_wait_xcnt 0x0
	s_mov_b64 s[10:11], s[0:1]
	s_mov_b32 s14, 0
	s_cbranch_execz .LBB0_527
	s_branch .LBB0_528
.LBB0_526:                              ;   in Loop: Header=BB0_507 Depth=1
	s_wait_xcnt 0x0
	s_add_nc_u64 s[10:11], s[0:1], 8
	s_mov_b32 s14, 0
.LBB0_527:                              ;   in Loop: Header=BB0_507 Depth=1
	global_load_b64 v[20:21], v15, s[0:1]
	s_add_co_i32 s14, s15, -8
.LBB0_528:                              ;   in Loop: Header=BB0_507 Depth=1
	s_delay_alu instid0(SALU_CYCLE_1)
	s_cmp_gt_u32 s14, 7
	s_cbranch_scc1 .LBB0_533
; %bb.529:                              ;   in Loop: Header=BB0_507 Depth=1
	v_mov_b64_e32 v[22:23], 0
	s_cmp_eq_u32 s14, 0
	s_cbranch_scc1 .LBB0_532
; %bb.530:                              ;   in Loop: Header=BB0_507 Depth=1
	s_wait_xcnt 0x0
	s_mov_b64 s[0:1], 0
	s_mov_b64 s[12:13], 0
.LBB0_531:                              ;   Parent Loop BB0_507 Depth=1
                                        ; =>  This Inner Loop Header: Depth=2
	s_wait_xcnt 0x0
	s_add_nc_u64 s[16:17], s[10:11], s[12:13]
	s_add_nc_u64 s[12:13], s[12:13], 1
	global_load_u8 v1, v15, s[16:17]
	s_cmp_lg_u32 s14, s12
	s_wait_loadcnt 0x0
	v_and_b32_e32 v14, 0xffff, v1
	s_delay_alu instid0(VALU_DEP_1) | instskip(SKIP_1) | instid1(VALU_DEP_1)
	v_lshlrev_b64_e32 v[4:5], s0, v[14:15]
	s_add_nc_u64 s[0:1], s[0:1], 8
	v_or_b32_e32 v22, v4, v22
	s_delay_alu instid0(VALU_DEP_2)
	v_or_b32_e32 v23, v5, v23
	s_cbranch_scc1 .LBB0_531
.LBB0_532:                              ;   in Loop: Header=BB0_507 Depth=1
	s_wait_xcnt 0x0
	s_mov_b64 s[0:1], s[10:11]
	s_mov_b32 s15, 0
	s_cbranch_execz .LBB0_534
	s_branch .LBB0_535
.LBB0_533:                              ;   in Loop: Header=BB0_507 Depth=1
	s_wait_xcnt 0x0
	s_add_nc_u64 s[0:1], s[10:11], 8
                                        ; implicit-def: $vgpr22_vgpr23
	s_mov_b32 s15, 0
.LBB0_534:                              ;   in Loop: Header=BB0_507 Depth=1
	global_load_b64 v[22:23], v15, s[10:11]
	s_add_co_i32 s15, s14, -8
.LBB0_535:                              ;   in Loop: Header=BB0_507 Depth=1
	s_delay_alu instid0(SALU_CYCLE_1)
	s_cmp_gt_u32 s15, 7
	s_cbranch_scc1 .LBB0_540
; %bb.536:                              ;   in Loop: Header=BB0_507 Depth=1
	v_mov_b64_e32 v[24:25], 0
	s_cmp_eq_u32 s15, 0
	s_cbranch_scc1 .LBB0_539
; %bb.537:                              ;   in Loop: Header=BB0_507 Depth=1
	s_wait_xcnt 0x0
	s_mov_b64 s[10:11], 0
	s_mov_b64 s[12:13], 0
.LBB0_538:                              ;   Parent Loop BB0_507 Depth=1
                                        ; =>  This Inner Loop Header: Depth=2
	s_wait_xcnt 0x0
	s_add_nc_u64 s[16:17], s[0:1], s[12:13]
	s_add_nc_u64 s[12:13], s[12:13], 1
	global_load_u8 v1, v15, s[16:17]
	s_cmp_lg_u32 s15, s12
	s_wait_loadcnt 0x0
	v_and_b32_e32 v14, 0xffff, v1
	s_delay_alu instid0(VALU_DEP_1) | instskip(SKIP_1) | instid1(VALU_DEP_1)
	v_lshlrev_b64_e32 v[4:5], s10, v[14:15]
	s_add_nc_u64 s[10:11], s[10:11], 8
	v_or_b32_e32 v24, v4, v24
	s_delay_alu instid0(VALU_DEP_2)
	v_or_b32_e32 v25, v5, v25
	s_cbranch_scc1 .LBB0_538
.LBB0_539:                              ;   in Loop: Header=BB0_507 Depth=1
	s_wait_xcnt 0x0
	s_mov_b64 s[10:11], s[0:1]
	s_mov_b32 s14, 0
	s_cbranch_execz .LBB0_541
	s_branch .LBB0_542
.LBB0_540:                              ;   in Loop: Header=BB0_507 Depth=1
	s_wait_xcnt 0x0
	s_add_nc_u64 s[10:11], s[0:1], 8
	s_mov_b32 s14, 0
.LBB0_541:                              ;   in Loop: Header=BB0_507 Depth=1
	global_load_b64 v[24:25], v15, s[0:1]
	s_add_co_i32 s14, s15, -8
.LBB0_542:                              ;   in Loop: Header=BB0_507 Depth=1
	s_delay_alu instid0(SALU_CYCLE_1)
	s_cmp_gt_u32 s14, 7
	s_cbranch_scc1 .LBB0_547
; %bb.543:                              ;   in Loop: Header=BB0_507 Depth=1
	v_mov_b64_e32 v[26:27], 0
	s_cmp_eq_u32 s14, 0
	s_cbranch_scc1 .LBB0_546
; %bb.544:                              ;   in Loop: Header=BB0_507 Depth=1
	s_wait_xcnt 0x0
	s_mov_b64 s[0:1], 0
	s_mov_b64 s[12:13], 0
.LBB0_545:                              ;   Parent Loop BB0_507 Depth=1
                                        ; =>  This Inner Loop Header: Depth=2
	s_wait_xcnt 0x0
	s_add_nc_u64 s[16:17], s[10:11], s[12:13]
	s_add_nc_u64 s[12:13], s[12:13], 1
	global_load_u8 v1, v15, s[16:17]
	s_cmp_lg_u32 s14, s12
	s_wait_loadcnt 0x0
	v_and_b32_e32 v14, 0xffff, v1
	s_delay_alu instid0(VALU_DEP_1) | instskip(SKIP_1) | instid1(VALU_DEP_1)
	v_lshlrev_b64_e32 v[4:5], s0, v[14:15]
	s_add_nc_u64 s[0:1], s[0:1], 8
	v_or_b32_e32 v26, v4, v26
	s_delay_alu instid0(VALU_DEP_2)
	v_or_b32_e32 v27, v5, v27
	s_cbranch_scc1 .LBB0_545
.LBB0_546:                              ;   in Loop: Header=BB0_507 Depth=1
	s_wait_xcnt 0x0
	s_mov_b64 s[0:1], s[10:11]
	s_mov_b32 s15, 0
	s_cbranch_execz .LBB0_548
	s_branch .LBB0_549
.LBB0_547:                              ;   in Loop: Header=BB0_507 Depth=1
	s_wait_xcnt 0x0
	s_add_nc_u64 s[0:1], s[10:11], 8
                                        ; implicit-def: $vgpr26_vgpr27
	s_mov_b32 s15, 0
.LBB0_548:                              ;   in Loop: Header=BB0_507 Depth=1
	global_load_b64 v[26:27], v15, s[10:11]
	s_add_co_i32 s15, s14, -8
.LBB0_549:                              ;   in Loop: Header=BB0_507 Depth=1
	s_delay_alu instid0(SALU_CYCLE_1)
	s_cmp_gt_u32 s15, 7
	s_cbranch_scc1 .LBB0_554
; %bb.550:                              ;   in Loop: Header=BB0_507 Depth=1
	v_mov_b64_e32 v[28:29], 0
	s_cmp_eq_u32 s15, 0
	s_cbranch_scc1 .LBB0_553
; %bb.551:                              ;   in Loop: Header=BB0_507 Depth=1
	s_wait_xcnt 0x0
	s_mov_b64 s[10:11], 0
	s_mov_b64 s[12:13], s[0:1]
.LBB0_552:                              ;   Parent Loop BB0_507 Depth=1
                                        ; =>  This Inner Loop Header: Depth=2
	global_load_u8 v1, v15, s[12:13]
	s_add_co_i32 s15, s15, -1
	s_wait_xcnt 0x0
	s_add_nc_u64 s[12:13], s[12:13], 1
	s_cmp_lg_u32 s15, 0
	s_wait_loadcnt 0x0
	v_and_b32_e32 v14, 0xffff, v1
	s_delay_alu instid0(VALU_DEP_1) | instskip(SKIP_1) | instid1(VALU_DEP_1)
	v_lshlrev_b64_e32 v[4:5], s10, v[14:15]
	s_add_nc_u64 s[10:11], s[10:11], 8
	v_or_b32_e32 v28, v4, v28
	s_delay_alu instid0(VALU_DEP_2)
	v_or_b32_e32 v29, v5, v29
	s_cbranch_scc1 .LBB0_552
.LBB0_553:                              ;   in Loop: Header=BB0_507 Depth=1
	s_wait_xcnt 0x0
	s_cbranch_execz .LBB0_555
	s_branch .LBB0_556
.LBB0_554:                              ;   in Loop: Header=BB0_507 Depth=1
	s_wait_xcnt 0x0
.LBB0_555:                              ;   in Loop: Header=BB0_507 Depth=1
	global_load_b64 v[28:29], v15, s[0:1]
.LBB0_556:                              ;   in Loop: Header=BB0_507 Depth=1
	s_wait_xcnt 0x0
	v_readfirstlane_b32 s0, v38
	v_mov_b64_e32 v[4:5], 0
	s_delay_alu instid0(VALU_DEP_2)
	v_cmp_eq_u32_e64 s0, s0, v38
	s_and_saveexec_b32 s1, s0
	s_cbranch_execz .LBB0_562
; %bb.557:                              ;   in Loop: Header=BB0_507 Depth=1
	global_load_b64 v[32:33], v15, s[4:5] offset:24 scope:SCOPE_SYS
	s_wait_loadcnt 0x0
	global_inv scope:SCOPE_SYS
	s_clause 0x1
	global_load_b64 v[4:5], v15, s[4:5] offset:40
	global_load_b64 v[30:31], v15, s[4:5]
	s_mov_b32 s10, exec_lo
	s_wait_loadcnt 0x1
	v_and_b32_e32 v4, v4, v32
	v_and_b32_e32 v5, v5, v33
	s_delay_alu instid0(VALU_DEP_1) | instskip(SKIP_1) | instid1(VALU_DEP_1)
	v_mul_u64_e32 v[4:5], 24, v[4:5]
	s_wait_loadcnt 0x0
	v_add_nc_u64_e32 v[4:5], v[30:31], v[4:5]
	global_load_b64 v[30:31], v[4:5], off scope:SCOPE_SYS
	s_wait_xcnt 0x0
	s_wait_loadcnt 0x0
	global_atomic_cmpswap_b64 v[4:5], v15, v[30:33], s[4:5] offset:24 th:TH_ATOMIC_RETURN scope:SCOPE_SYS
	s_wait_loadcnt 0x0
	global_inv scope:SCOPE_SYS
	s_wait_xcnt 0x0
	v_cmpx_ne_u64_e64 v[4:5], v[32:33]
	s_cbranch_execz .LBB0_561
; %bb.558:                              ;   in Loop: Header=BB0_507 Depth=1
	s_mov_b32 s11, 0
.LBB0_559:                              ;   Parent Loop BB0_507 Depth=1
                                        ; =>  This Inner Loop Header: Depth=2
	s_sleep 1
	s_clause 0x1
	global_load_b64 v[30:31], v15, s[4:5] offset:40
	global_load_b64 v[36:37], v15, s[4:5]
	v_mov_b64_e32 v[32:33], v[4:5]
	s_wait_loadcnt 0x1
	s_delay_alu instid0(VALU_DEP_1) | instskip(SKIP_1) | instid1(VALU_DEP_1)
	v_and_b32_e32 v1, v30, v32
	s_wait_loadcnt 0x0
	v_mad_nc_u64_u32 v[4:5], v1, 24, v[36:37]
	s_delay_alu instid0(VALU_DEP_3) | instskip(NEXT) | instid1(VALU_DEP_1)
	v_and_b32_e32 v1, v31, v33
	v_mad_u32 v5, v1, 24, v5
	global_load_b64 v[30:31], v[4:5], off scope:SCOPE_SYS
	s_wait_xcnt 0x0
	s_wait_loadcnt 0x0
	global_atomic_cmpswap_b64 v[4:5], v15, v[30:33], s[4:5] offset:24 th:TH_ATOMIC_RETURN scope:SCOPE_SYS
	s_wait_loadcnt 0x0
	global_inv scope:SCOPE_SYS
	v_cmp_eq_u64_e32 vcc_lo, v[4:5], v[32:33]
	s_or_b32 s11, vcc_lo, s11
	s_wait_xcnt 0x0
	s_and_not1_b32 exec_lo, exec_lo, s11
	s_cbranch_execnz .LBB0_559
; %bb.560:                              ;   in Loop: Header=BB0_507 Depth=1
	s_or_b32 exec_lo, exec_lo, s11
.LBB0_561:                              ;   in Loop: Header=BB0_507 Depth=1
	s_delay_alu instid0(SALU_CYCLE_1)
	s_or_b32 exec_lo, exec_lo, s10
.LBB0_562:                              ;   in Loop: Header=BB0_507 Depth=1
	s_delay_alu instid0(SALU_CYCLE_1)
	s_or_b32 exec_lo, exec_lo, s1
	s_clause 0x1
	global_load_b64 v[36:37], v15, s[4:5] offset:40
	global_load_b128 v[30:33], v15, s[4:5]
	v_readfirstlane_b32 s10, v4
	v_readfirstlane_b32 s11, v5
	s_mov_b32 s1, exec_lo
	s_wait_loadcnt 0x1
	v_and_b32_e32 v36, s10, v36
	v_and_b32_e32 v37, s11, v37
	s_delay_alu instid0(VALU_DEP_1) | instskip(SKIP_1) | instid1(VALU_DEP_1)
	v_mul_u64_e32 v[4:5], 24, v[36:37]
	s_wait_loadcnt 0x0
	v_add_nc_u64_e32 v[4:5], v[30:31], v[4:5]
	s_wait_xcnt 0x0
	s_and_saveexec_b32 s12, s0
	s_cbranch_execz .LBB0_564
; %bb.563:                              ;   in Loop: Header=BB0_507 Depth=1
	v_mov_b32_e32 v14, s1
	global_store_b128 v[4:5], v[14:17], off offset:8
.LBB0_564:                              ;   in Loop: Header=BB0_507 Depth=1
	s_wait_xcnt 0x0
	s_or_b32 exec_lo, exec_lo, s12
	v_cmp_lt_u64_e64 vcc_lo, s[6:7], 57
	v_lshlrev_b64_e32 v[36:37], 12, v[36:37]
	v_and_b32_e32 v3, 0xffffff1f, v10
	s_lshl_b32 s1, s8, 2
	s_delay_alu instid0(SALU_CYCLE_1) | instskip(SKIP_1) | instid1(VALU_DEP_3)
	s_add_co_i32 s1, s1, 28
	v_cndmask_b32_e32 v1, 0, v0, vcc_lo
	v_add_nc_u64_e32 v[32:33], v[32:33], v[36:37]
	s_delay_alu instid0(VALU_DEP_2) | instskip(NEXT) | instid1(VALU_DEP_2)
	v_or_b32_e32 v1, v3, v1
	v_readfirstlane_b32 s12, v32
	s_delay_alu instid0(VALU_DEP_3) | instskip(NEXT) | instid1(VALU_DEP_3)
	v_readfirstlane_b32 s13, v33
	v_and_or_b32 v10, 0x1e0, s1, v1
	s_clause 0x3
	global_store_b128 v34, v[10:13], s[12:13]
	global_store_b128 v34, v[18:21], s[12:13] offset:16
	global_store_b128 v34, v[22:25], s[12:13] offset:32
	;; [unrolled: 1-line block ×3, first 2 shown]
	s_wait_xcnt 0x0
	s_and_saveexec_b32 s1, s0
	s_cbranch_execz .LBB0_572
; %bb.565:                              ;   in Loop: Header=BB0_507 Depth=1
	s_clause 0x1
	global_load_b64 v[22:23], v15, s[4:5] offset:32 scope:SCOPE_SYS
	global_load_b64 v[10:11], v15, s[4:5] offset:40
	s_mov_b32 s12, exec_lo
	v_dual_mov_b32 v20, s10 :: v_dual_mov_b32 v21, s11
	s_wait_loadcnt 0x0
	v_and_b32_e32 v11, s11, v11
	v_and_b32_e32 v10, s10, v10
	s_delay_alu instid0(VALU_DEP_1) | instskip(NEXT) | instid1(VALU_DEP_1)
	v_mul_u64_e32 v[10:11], 24, v[10:11]
	v_add_nc_u64_e32 v[18:19], v[30:31], v[10:11]
	global_store_b64 v[18:19], v[22:23], off
	global_wb scope:SCOPE_SYS
	s_wait_storecnt 0x0
	s_wait_xcnt 0x0
	global_atomic_cmpswap_b64 v[12:13], v15, v[20:23], s[4:5] offset:32 th:TH_ATOMIC_RETURN scope:SCOPE_SYS
	s_wait_loadcnt 0x0
	v_cmpx_ne_u64_e64 v[12:13], v[22:23]
	s_cbranch_execz .LBB0_568
; %bb.566:                              ;   in Loop: Header=BB0_507 Depth=1
	s_mov_b32 s13, 0
.LBB0_567:                              ;   Parent Loop BB0_507 Depth=1
                                        ; =>  This Inner Loop Header: Depth=2
	v_dual_mov_b32 v10, s10 :: v_dual_mov_b32 v11, s11
	s_sleep 1
	global_store_b64 v[18:19], v[12:13], off
	global_wb scope:SCOPE_SYS
	s_wait_storecnt 0x0
	s_wait_xcnt 0x0
	global_atomic_cmpswap_b64 v[10:11], v15, v[10:13], s[4:5] offset:32 th:TH_ATOMIC_RETURN scope:SCOPE_SYS
	s_wait_loadcnt 0x0
	v_cmp_eq_u64_e32 vcc_lo, v[10:11], v[12:13]
	v_mov_b64_e32 v[12:13], v[10:11]
	s_or_b32 s13, vcc_lo, s13
	s_delay_alu instid0(SALU_CYCLE_1)
	s_and_not1_b32 exec_lo, exec_lo, s13
	s_cbranch_execnz .LBB0_567
.LBB0_568:                              ;   in Loop: Header=BB0_507 Depth=1
	s_or_b32 exec_lo, exec_lo, s12
	global_load_b64 v[10:11], v15, s[4:5] offset:16
	s_mov_b32 s13, exec_lo
	s_mov_b32 s12, exec_lo
	v_mbcnt_lo_u32_b32 v1, s13, 0
	s_wait_xcnt 0x0
	s_delay_alu instid0(VALU_DEP_1)
	v_cmpx_eq_u32_e32 0, v1
	s_cbranch_execz .LBB0_570
; %bb.569:                              ;   in Loop: Header=BB0_507 Depth=1
	s_bcnt1_i32_b32 s13, s13
	s_delay_alu instid0(SALU_CYCLE_1)
	v_mov_b32_e32 v14, s13
	global_wb scope:SCOPE_SYS
	s_wait_loadcnt 0x0
	s_wait_storecnt 0x0
	global_atomic_add_u64 v[10:11], v[14:15], off offset:8 scope:SCOPE_SYS
.LBB0_570:                              ;   in Loop: Header=BB0_507 Depth=1
	s_wait_xcnt 0x0
	s_or_b32 exec_lo, exec_lo, s12
	s_wait_loadcnt 0x0
	global_load_b64 v[12:13], v[10:11], off offset:16
	s_wait_loadcnt 0x0
	v_cmp_eq_u64_e32 vcc_lo, 0, v[12:13]
	s_cbranch_vccnz .LBB0_572
; %bb.571:                              ;   in Loop: Header=BB0_507 Depth=1
	global_load_b32 v14, v[10:11], off offset:24
	s_wait_loadcnt 0x0
	v_readfirstlane_b32 s12, v14
	global_wb scope:SCOPE_SYS
	s_wait_storecnt 0x0
	s_wait_xcnt 0x0
	global_store_b64 v[12:13], v[14:15], off scope:SCOPE_SYS
	s_and_b32 m0, s12, 0xffffff
	s_sendmsg sendmsg(MSG_INTERRUPT)
.LBB0_572:                              ;   in Loop: Header=BB0_507 Depth=1
	s_wait_xcnt 0x0
	s_or_b32 exec_lo, exec_lo, s1
	v_mov_b32_e32 v35, v15
	s_delay_alu instid0(VALU_DEP_1)
	v_add_nc_u64_e32 v[10:11], v[32:33], v[34:35]
	s_branch .LBB0_576
.LBB0_573:                              ;   in Loop: Header=BB0_576 Depth=2
	s_wait_xcnt 0x0
	s_or_b32 exec_lo, exec_lo, s1
	s_delay_alu instid0(VALU_DEP_1)
	v_readfirstlane_b32 s1, v1
	s_cmp_eq_u32 s1, 0
	s_cbranch_scc1 .LBB0_575
; %bb.574:                              ;   in Loop: Header=BB0_576 Depth=2
	s_sleep 1
	s_cbranch_execnz .LBB0_576
	s_branch .LBB0_578
.LBB0_575:                              ;   in Loop: Header=BB0_507 Depth=1
	s_branch .LBB0_578
.LBB0_576:                              ;   Parent Loop BB0_507 Depth=1
                                        ; =>  This Inner Loop Header: Depth=2
	v_mov_b32_e32 v1, 1
	s_and_saveexec_b32 s1, s0
	s_cbranch_execz .LBB0_573
; %bb.577:                              ;   in Loop: Header=BB0_576 Depth=2
	global_load_b32 v1, v[4:5], off offset:20 scope:SCOPE_SYS
	s_wait_loadcnt 0x0
	global_inv scope:SCOPE_SYS
	v_and_b32_e32 v1, 1, v1
	s_branch .LBB0_573
.LBB0_578:                              ;   in Loop: Header=BB0_507 Depth=1
	global_load_b64 v[10:11], v[10:11], off
	s_wait_xcnt 0x0
	s_and_saveexec_b32 s12, s0
	s_cbranch_execz .LBB0_506
; %bb.579:                              ;   in Loop: Header=BB0_507 Depth=1
	s_clause 0x2
	global_load_b64 v[4:5], v15, s[4:5] offset:40
	global_load_b64 v[22:23], v15, s[4:5] offset:24 scope:SCOPE_SYS
	global_load_b64 v[12:13], v15, s[4:5]
	s_wait_loadcnt 0x2
	v_readfirstlane_b32 s14, v4
	v_readfirstlane_b32 s15, v5
	s_add_nc_u64 s[0:1], s[14:15], 1
	s_delay_alu instid0(SALU_CYCLE_1) | instskip(NEXT) | instid1(SALU_CYCLE_1)
	s_add_nc_u64 s[10:11], s[0:1], s[10:11]
	s_cmp_eq_u64 s[10:11], 0
	s_cselect_b32 s1, s1, s11
	s_cselect_b32 s0, s0, s10
	s_delay_alu instid0(SALU_CYCLE_1) | instskip(SKIP_1) | instid1(SALU_CYCLE_1)
	v_dual_mov_b32 v21, s1 :: v_dual_mov_b32 v20, s0
	s_and_b64 s[10:11], s[0:1], s[14:15]
	s_mul_u64 s[10:11], s[10:11], 24
	s_wait_loadcnt 0x0
	v_add_nc_u64_e32 v[4:5], s[10:11], v[12:13]
	global_store_b64 v[4:5], v[22:23], off
	global_wb scope:SCOPE_SYS
	s_wait_storecnt 0x0
	s_wait_xcnt 0x0
	global_atomic_cmpswap_b64 v[20:21], v15, v[20:23], s[4:5] offset:24 th:TH_ATOMIC_RETURN scope:SCOPE_SYS
	s_wait_loadcnt 0x0
	v_cmp_ne_u64_e32 vcc_lo, v[20:21], v[22:23]
	s_and_b32 exec_lo, exec_lo, vcc_lo
	s_cbranch_execz .LBB0_506
; %bb.580:                              ;   in Loop: Header=BB0_507 Depth=1
	s_mov_b32 s10, 0
.LBB0_581:                              ;   Parent Loop BB0_507 Depth=1
                                        ; =>  This Inner Loop Header: Depth=2
	v_dual_mov_b32 v18, s0 :: v_dual_mov_b32 v19, s1
	s_sleep 1
	global_store_b64 v[4:5], v[20:21], off
	global_wb scope:SCOPE_SYS
	s_wait_storecnt 0x0
	s_wait_xcnt 0x0
	global_atomic_cmpswap_b64 v[12:13], v15, v[18:21], s[4:5] offset:24 th:TH_ATOMIC_RETURN scope:SCOPE_SYS
	s_wait_loadcnt 0x0
	v_cmp_eq_u64_e32 vcc_lo, v[12:13], v[20:21]
	v_mov_b64_e32 v[20:21], v[12:13]
	s_or_b32 s10, vcc_lo, s10
	s_delay_alu instid0(SALU_CYCLE_1)
	s_and_not1_b32 exec_lo, exec_lo, s10
	s_cbranch_execnz .LBB0_581
	s_branch .LBB0_506
.LBB0_582:
	s_branch .LBB0_611
.LBB0_583:
                                        ; implicit-def: $vgpr10_vgpr11
	s_cbranch_execz .LBB0_611
; %bb.584:
	v_readfirstlane_b32 s0, v38
	v_mov_b64_e32 v[0:1], 0
	s_delay_alu instid0(VALU_DEP_2)
	v_cmp_eq_u32_e64 s0, s0, v38
	s_and_saveexec_b32 s1, s0
	s_cbranch_execz .LBB0_590
; %bb.585:
	v_mov_b32_e32 v3, 0
	s_mov_b32 s2, exec_lo
	global_load_b64 v[12:13], v3, s[4:5] offset:24 scope:SCOPE_SYS
	s_wait_loadcnt 0x0
	global_inv scope:SCOPE_SYS
	s_clause 0x1
	global_load_b64 v[0:1], v3, s[4:5] offset:40
	global_load_b64 v[4:5], v3, s[4:5]
	s_wait_loadcnt 0x1
	v_and_b32_e32 v0, v0, v12
	v_and_b32_e32 v1, v1, v13
	s_delay_alu instid0(VALU_DEP_1) | instskip(SKIP_1) | instid1(VALU_DEP_1)
	v_mul_u64_e32 v[0:1], 24, v[0:1]
	s_wait_loadcnt 0x0
	v_add_nc_u64_e32 v[0:1], v[4:5], v[0:1]
	global_load_b64 v[10:11], v[0:1], off scope:SCOPE_SYS
	s_wait_xcnt 0x0
	s_wait_loadcnt 0x0
	global_atomic_cmpswap_b64 v[0:1], v3, v[10:13], s[4:5] offset:24 th:TH_ATOMIC_RETURN scope:SCOPE_SYS
	s_wait_loadcnt 0x0
	global_inv scope:SCOPE_SYS
	s_wait_xcnt 0x0
	v_cmpx_ne_u64_e64 v[0:1], v[12:13]
	s_cbranch_execz .LBB0_589
; %bb.586:
	s_mov_b32 s3, 0
.LBB0_587:                              ; =>This Inner Loop Header: Depth=1
	s_sleep 1
	s_clause 0x1
	global_load_b64 v[4:5], v3, s[4:5] offset:40
	global_load_b64 v[10:11], v3, s[4:5]
	v_mov_b64_e32 v[12:13], v[0:1]
	s_wait_loadcnt 0x1
	s_delay_alu instid0(VALU_DEP_1) | instskip(NEXT) | instid1(VALU_DEP_2)
	v_and_b32_e32 v0, v4, v12
	v_and_b32_e32 v4, v5, v13
	s_wait_loadcnt 0x0
	s_delay_alu instid0(VALU_DEP_2) | instskip(NEXT) | instid1(VALU_DEP_1)
	v_mad_nc_u64_u32 v[0:1], v0, 24, v[10:11]
	v_mad_u32 v1, v4, 24, v1
	global_load_b64 v[10:11], v[0:1], off scope:SCOPE_SYS
	s_wait_xcnt 0x0
	s_wait_loadcnt 0x0
	global_atomic_cmpswap_b64 v[0:1], v3, v[10:13], s[4:5] offset:24 th:TH_ATOMIC_RETURN scope:SCOPE_SYS
	s_wait_loadcnt 0x0
	global_inv scope:SCOPE_SYS
	v_cmp_eq_u64_e32 vcc_lo, v[0:1], v[12:13]
	s_or_b32 s3, vcc_lo, s3
	s_wait_xcnt 0x0
	s_and_not1_b32 exec_lo, exec_lo, s3
	s_cbranch_execnz .LBB0_587
; %bb.588:
	s_or_b32 exec_lo, exec_lo, s3
.LBB0_589:
	s_delay_alu instid0(SALU_CYCLE_1)
	s_or_b32 exec_lo, exec_lo, s2
.LBB0_590:
	s_delay_alu instid0(SALU_CYCLE_1)
	s_or_b32 exec_lo, exec_lo, s1
	v_readfirstlane_b32 s2, v0
	v_mov_b32_e32 v35, 0
	v_readfirstlane_b32 s3, v1
	s_mov_b32 s1, exec_lo
	s_clause 0x1
	global_load_b64 v[4:5], v35, s[4:5] offset:40
	global_load_b128 v[12:15], v35, s[4:5]
	s_wait_loadcnt 0x1
	v_and_b32_e32 v4, s2, v4
	v_and_b32_e32 v5, s3, v5
	s_delay_alu instid0(VALU_DEP_1) | instskip(SKIP_1) | instid1(VALU_DEP_1)
	v_mul_u64_e32 v[0:1], 24, v[4:5]
	s_wait_loadcnt 0x0
	v_add_nc_u64_e32 v[0:1], v[12:13], v[0:1]
	s_wait_xcnt 0x0
	s_and_saveexec_b32 s6, s0
	s_cbranch_execz .LBB0_592
; %bb.591:
	v_mov_b64_e32 v[18:19], 0x100000002
	v_dual_mov_b32 v16, s1 :: v_dual_mov_b32 v17, v35
	global_store_b128 v[0:1], v[16:19], off offset:8
.LBB0_592:
	s_wait_xcnt 0x0
	s_or_b32 exec_lo, exec_lo, s6
	v_lshlrev_b64_e32 v[4:5], 12, v[4:5]
	s_mov_b32 s8, 0
	v_and_or_b32 v8, 0xffffff1f, v8, 32
	s_mov_b32 s10, s8
	s_mov_b32 s11, s8
	;; [unrolled: 1-line block ×3, first 2 shown]
	v_dual_mov_b32 v10, v35 :: v_dual_mov_b32 v11, v35
	v_add_nc_u64_e32 v[4:5], v[14:15], v[4:5]
	v_mov_b64_e32 v[16:17], s[10:11]
	v_mov_b64_e32 v[14:15], s[8:9]
	s_delay_alu instid0(VALU_DEP_3) | instskip(NEXT) | instid1(VALU_DEP_4)
	v_readfirstlane_b32 s6, v4
	v_readfirstlane_b32 s7, v5
	s_clause 0x3
	global_store_b128 v34, v[8:11], s[6:7]
	global_store_b128 v34, v[14:17], s[6:7] offset:16
	global_store_b128 v34, v[14:17], s[6:7] offset:32
	;; [unrolled: 1-line block ×3, first 2 shown]
	s_wait_xcnt 0x0
	s_and_saveexec_b32 s1, s0
	s_cbranch_execz .LBB0_600
; %bb.593:
	v_dual_mov_b32 v3, 0 :: v_dual_mov_b32 v15, s3
	s_mov_b32 s6, exec_lo
	s_clause 0x1
	global_load_b64 v[16:17], v3, s[4:5] offset:32 scope:SCOPE_SYS
	global_load_b64 v[8:9], v3, s[4:5] offset:40
	s_wait_loadcnt 0x0
	v_dual_mov_b32 v14, s2 :: v_dual_bitop2_b32 v9, s3, v9 bitop3:0x40
	v_and_b32_e32 v8, s2, v8
	s_delay_alu instid0(VALU_DEP_1) | instskip(NEXT) | instid1(VALU_DEP_1)
	v_mul_u64_e32 v[8:9], 24, v[8:9]
	v_add_nc_u64_e32 v[12:13], v[12:13], v[8:9]
	global_store_b64 v[12:13], v[16:17], off
	global_wb scope:SCOPE_SYS
	s_wait_storecnt 0x0
	s_wait_xcnt 0x0
	global_atomic_cmpswap_b64 v[10:11], v3, v[14:17], s[4:5] offset:32 th:TH_ATOMIC_RETURN scope:SCOPE_SYS
	s_wait_loadcnt 0x0
	v_cmpx_ne_u64_e64 v[10:11], v[16:17]
	s_cbranch_execz .LBB0_596
; %bb.594:
	s_mov_b32 s7, 0
.LBB0_595:                              ; =>This Inner Loop Header: Depth=1
	v_dual_mov_b32 v8, s2 :: v_dual_mov_b32 v9, s3
	s_sleep 1
	global_store_b64 v[12:13], v[10:11], off
	global_wb scope:SCOPE_SYS
	s_wait_storecnt 0x0
	s_wait_xcnt 0x0
	global_atomic_cmpswap_b64 v[8:9], v3, v[8:11], s[4:5] offset:32 th:TH_ATOMIC_RETURN scope:SCOPE_SYS
	s_wait_loadcnt 0x0
	v_cmp_eq_u64_e32 vcc_lo, v[8:9], v[10:11]
	v_mov_b64_e32 v[10:11], v[8:9]
	s_or_b32 s7, vcc_lo, s7
	s_delay_alu instid0(SALU_CYCLE_1)
	s_and_not1_b32 exec_lo, exec_lo, s7
	s_cbranch_execnz .LBB0_595
.LBB0_596:
	s_or_b32 exec_lo, exec_lo, s6
	v_mov_b32_e32 v11, 0
	s_mov_b32 s7, exec_lo
	s_mov_b32 s6, exec_lo
	v_mbcnt_lo_u32_b32 v3, s7, 0
	global_load_b64 v[8:9], v11, s[4:5] offset:16
	s_wait_xcnt 0x0
	v_cmpx_eq_u32_e32 0, v3
	s_cbranch_execz .LBB0_598
; %bb.597:
	s_bcnt1_i32_b32 s7, s7
	s_delay_alu instid0(SALU_CYCLE_1)
	v_mov_b32_e32 v10, s7
	global_wb scope:SCOPE_SYS
	s_wait_loadcnt 0x0
	s_wait_storecnt 0x0
	global_atomic_add_u64 v[8:9], v[10:11], off offset:8 scope:SCOPE_SYS
.LBB0_598:
	s_wait_xcnt 0x0
	s_or_b32 exec_lo, exec_lo, s6
	s_wait_loadcnt 0x0
	global_load_b64 v[10:11], v[8:9], off offset:16
	s_wait_loadcnt 0x0
	v_cmp_eq_u64_e32 vcc_lo, 0, v[10:11]
	s_cbranch_vccnz .LBB0_600
; %bb.599:
	global_load_b32 v8, v[8:9], off offset:24
	s_wait_xcnt 0x0
	v_mov_b32_e32 v9, 0
	s_wait_loadcnt 0x0
	v_readfirstlane_b32 s6, v8
	global_wb scope:SCOPE_SYS
	s_wait_storecnt 0x0
	global_store_b64 v[10:11], v[8:9], off scope:SCOPE_SYS
	s_and_b32 m0, s6, 0xffffff
	s_sendmsg sendmsg(MSG_INTERRUPT)
.LBB0_600:
	s_wait_xcnt 0x0
	s_or_b32 exec_lo, exec_lo, s1
	v_add_nc_u64_e32 v[4:5], v[4:5], v[34:35]
	s_branch .LBB0_604
.LBB0_601:                              ;   in Loop: Header=BB0_604 Depth=1
	s_wait_xcnt 0x0
	s_or_b32 exec_lo, exec_lo, s1
	s_delay_alu instid0(VALU_DEP_1)
	v_readfirstlane_b32 s1, v3
	s_cmp_eq_u32 s1, 0
	s_cbranch_scc1 .LBB0_603
; %bb.602:                              ;   in Loop: Header=BB0_604 Depth=1
	s_sleep 1
	s_cbranch_execnz .LBB0_604
	s_branch .LBB0_606
.LBB0_603:
	s_branch .LBB0_606
.LBB0_604:                              ; =>This Inner Loop Header: Depth=1
	v_mov_b32_e32 v3, 1
	s_and_saveexec_b32 s1, s0
	s_cbranch_execz .LBB0_601
; %bb.605:                              ;   in Loop: Header=BB0_604 Depth=1
	global_load_b32 v3, v[0:1], off offset:20 scope:SCOPE_SYS
	s_wait_loadcnt 0x0
	global_inv scope:SCOPE_SYS
	v_and_b32_e32 v3, 1, v3
	s_branch .LBB0_601
.LBB0_606:
	global_load_b64 v[10:11], v[4:5], off
	s_wait_xcnt 0x0
	s_and_saveexec_b32 s6, s0
	s_cbranch_execz .LBB0_610
; %bb.607:
	v_mov_b32_e32 v3, 0
	s_clause 0x2
	global_load_b64 v[0:1], v3, s[4:5] offset:40
	global_load_b64 v[16:17], v3, s[4:5] offset:24 scope:SCOPE_SYS
	global_load_b64 v[4:5], v3, s[4:5]
	s_wait_loadcnt 0x2
	v_readfirstlane_b32 s8, v0
	v_readfirstlane_b32 s9, v1
	s_add_nc_u64 s[0:1], s[8:9], 1
	s_delay_alu instid0(SALU_CYCLE_1) | instskip(NEXT) | instid1(SALU_CYCLE_1)
	s_add_nc_u64 s[2:3], s[0:1], s[2:3]
	s_cmp_eq_u64 s[2:3], 0
	s_cselect_b32 s1, s1, s3
	s_cselect_b32 s0, s0, s2
	v_mov_b32_e32 v15, s1
	s_and_b64 s[2:3], s[0:1], s[8:9]
	v_mov_b32_e32 v14, s0
	s_mul_u64 s[2:3], s[2:3], 24
	s_wait_loadcnt 0x0
	v_add_nc_u64_e32 v[0:1], s[2:3], v[4:5]
	global_store_b64 v[0:1], v[16:17], off
	global_wb scope:SCOPE_SYS
	s_wait_storecnt 0x0
	s_wait_xcnt 0x0
	global_atomic_cmpswap_b64 v[14:15], v3, v[14:17], s[4:5] offset:24 th:TH_ATOMIC_RETURN scope:SCOPE_SYS
	s_wait_loadcnt 0x0
	v_cmp_ne_u64_e32 vcc_lo, v[14:15], v[16:17]
	s_and_b32 exec_lo, exec_lo, vcc_lo
	s_cbranch_execz .LBB0_610
; %bb.608:
	s_mov_b32 s2, 0
.LBB0_609:                              ; =>This Inner Loop Header: Depth=1
	v_dual_mov_b32 v12, s0 :: v_dual_mov_b32 v13, s1
	s_sleep 1
	global_store_b64 v[0:1], v[14:15], off
	global_wb scope:SCOPE_SYS
	s_wait_storecnt 0x0
	s_wait_xcnt 0x0
	global_atomic_cmpswap_b64 v[4:5], v3, v[12:15], s[4:5] offset:24 th:TH_ATOMIC_RETURN scope:SCOPE_SYS
	s_wait_loadcnt 0x0
	v_cmp_eq_u64_e32 vcc_lo, v[4:5], v[14:15]
	v_mov_b64_e32 v[14:15], v[4:5]
	s_or_b32 s2, vcc_lo, s2
	s_delay_alu instid0(SALU_CYCLE_1)
	s_and_not1_b32 exec_lo, exec_lo, s2
	s_cbranch_execnz .LBB0_609
.LBB0_610:
	s_or_b32 exec_lo, exec_lo, s6
.LBB0_611:
	v_readfirstlane_b32 s0, v38
	v_mov_b64_e32 v[0:1], 0
	s_delay_alu instid0(VALU_DEP_2)
	v_cmp_eq_u32_e64 s0, s0, v38
	s_and_saveexec_b32 s1, s0
	s_cbranch_execz .LBB0_617
; %bb.612:
	v_mov_b32_e32 v3, 0
	s_mov_b32 s2, exec_lo
	global_load_b64 v[14:15], v3, s[4:5] offset:24 scope:SCOPE_SYS
	s_wait_loadcnt 0x0
	global_inv scope:SCOPE_SYS
	s_clause 0x1
	global_load_b64 v[0:1], v3, s[4:5] offset:40
	global_load_b64 v[4:5], v3, s[4:5]
	s_wait_loadcnt 0x1
	v_and_b32_e32 v0, v0, v14
	v_and_b32_e32 v1, v1, v15
	s_delay_alu instid0(VALU_DEP_1) | instskip(SKIP_1) | instid1(VALU_DEP_1)
	v_mul_u64_e32 v[0:1], 24, v[0:1]
	s_wait_loadcnt 0x0
	v_add_nc_u64_e32 v[0:1], v[4:5], v[0:1]
	global_load_b64 v[12:13], v[0:1], off scope:SCOPE_SYS
	s_wait_xcnt 0x0
	s_wait_loadcnt 0x0
	global_atomic_cmpswap_b64 v[0:1], v3, v[12:15], s[4:5] offset:24 th:TH_ATOMIC_RETURN scope:SCOPE_SYS
	s_wait_loadcnt 0x0
	global_inv scope:SCOPE_SYS
	s_wait_xcnt 0x0
	v_cmpx_ne_u64_e64 v[0:1], v[14:15]
	s_cbranch_execz .LBB0_616
; %bb.613:
	s_mov_b32 s3, 0
.LBB0_614:                              ; =>This Inner Loop Header: Depth=1
	s_sleep 1
	s_clause 0x1
	global_load_b64 v[4:5], v3, s[4:5] offset:40
	global_load_b64 v[8:9], v3, s[4:5]
	v_mov_b64_e32 v[14:15], v[0:1]
	s_wait_loadcnt 0x1
	s_delay_alu instid0(VALU_DEP_1) | instskip(NEXT) | instid1(VALU_DEP_2)
	v_and_b32_e32 v0, v4, v14
	v_and_b32_e32 v4, v5, v15
	s_wait_loadcnt 0x0
	s_delay_alu instid0(VALU_DEP_2) | instskip(NEXT) | instid1(VALU_DEP_1)
	v_mad_nc_u64_u32 v[0:1], v0, 24, v[8:9]
	v_mad_u32 v1, v4, 24, v1
	global_load_b64 v[12:13], v[0:1], off scope:SCOPE_SYS
	s_wait_xcnt 0x0
	s_wait_loadcnt 0x0
	global_atomic_cmpswap_b64 v[0:1], v3, v[12:15], s[4:5] offset:24 th:TH_ATOMIC_RETURN scope:SCOPE_SYS
	s_wait_loadcnt 0x0
	global_inv scope:SCOPE_SYS
	v_cmp_eq_u64_e32 vcc_lo, v[0:1], v[14:15]
	s_or_b32 s3, vcc_lo, s3
	s_wait_xcnt 0x0
	s_and_not1_b32 exec_lo, exec_lo, s3
	s_cbranch_execnz .LBB0_614
; %bb.615:
	s_or_b32 exec_lo, exec_lo, s3
.LBB0_616:
	s_delay_alu instid0(SALU_CYCLE_1)
	s_or_b32 exec_lo, exec_lo, s2
.LBB0_617:
	s_delay_alu instid0(SALU_CYCLE_1)
	s_or_b32 exec_lo, exec_lo, s1
	v_readfirstlane_b32 s2, v0
	v_mov_b32_e32 v35, 0
	v_readfirstlane_b32 s3, v1
	s_mov_b32 s1, exec_lo
	s_clause 0x1
	global_load_b64 v[4:5], v35, s[4:5] offset:40
	global_load_b128 v[14:17], v35, s[4:5]
	s_wait_loadcnt 0x1
	v_and_b32_e32 v4, s2, v4
	v_and_b32_e32 v5, s3, v5
	s_delay_alu instid0(VALU_DEP_1) | instskip(SKIP_1) | instid1(VALU_DEP_1)
	v_mul_u64_e32 v[0:1], 24, v[4:5]
	s_wait_loadcnt 0x0
	v_add_nc_u64_e32 v[0:1], v[14:15], v[0:1]
	s_wait_xcnt 0x0
	s_and_saveexec_b32 s6, s0
	s_cbranch_execz .LBB0_619
; %bb.618:
	v_mov_b64_e32 v[20:21], 0x100000002
	v_dual_mov_b32 v18, s1 :: v_dual_mov_b32 v19, v35
	global_store_b128 v[0:1], v[18:21], off offset:8
.LBB0_619:
	s_wait_xcnt 0x0
	s_or_b32 exec_lo, exec_lo, s6
	v_lshlrev_b64_e32 v[4:5], 12, v[4:5]
	s_mov_b32 s8, 0
	v_and_or_b32 v10, 0xffffff1f, v10, 32
	s_mov_b32 s10, s8
	s_mov_b32 s11, s8
	;; [unrolled: 1-line block ×3, first 2 shown]
	v_dual_mov_b32 v12, s18 :: v_dual_mov_b32 v13, v35
	v_add_nc_u64_e32 v[4:5], v[16:17], v[4:5]
	v_mov_b64_e32 v[18:19], s[10:11]
	v_mov_b64_e32 v[16:17], s[8:9]
	s_delay_alu instid0(VALU_DEP_3) | instskip(NEXT) | instid1(VALU_DEP_4)
	v_readfirstlane_b32 s6, v4
	v_readfirstlane_b32 s7, v5
	s_clause 0x3
	global_store_b128 v34, v[10:13], s[6:7]
	global_store_b128 v34, v[16:19], s[6:7] offset:16
	global_store_b128 v34, v[16:19], s[6:7] offset:32
	;; [unrolled: 1-line block ×3, first 2 shown]
	s_wait_xcnt 0x0
	s_and_saveexec_b32 s1, s0
	s_cbranch_execz .LBB0_627
; %bb.620:
	v_mov_b32_e32 v3, 0
	s_mov_b32 s6, exec_lo
	s_clause 0x1
	global_load_b64 v[16:17], v3, s[4:5] offset:32 scope:SCOPE_SYS
	global_load_b64 v[8:9], v3, s[4:5] offset:40
	s_wait_loadcnt 0x0
	v_and_b32_e32 v8, s2, v8
	v_and_b32_e32 v9, s3, v9
	s_delay_alu instid0(VALU_DEP_1) | instskip(NEXT) | instid1(VALU_DEP_1)
	v_mul_u64_e32 v[8:9], 24, v[8:9]
	v_add_nc_u64_e32 v[12:13], v[14:15], v[8:9]
	v_dual_mov_b32 v14, s2 :: v_dual_mov_b32 v15, s3
	global_store_b64 v[12:13], v[16:17], off
	global_wb scope:SCOPE_SYS
	s_wait_storecnt 0x0
	s_wait_xcnt 0x0
	global_atomic_cmpswap_b64 v[10:11], v3, v[14:17], s[4:5] offset:32 th:TH_ATOMIC_RETURN scope:SCOPE_SYS
	s_wait_loadcnt 0x0
	v_cmpx_ne_u64_e64 v[10:11], v[16:17]
	s_cbranch_execz .LBB0_623
; %bb.621:
	s_mov_b32 s7, 0
.LBB0_622:                              ; =>This Inner Loop Header: Depth=1
	v_dual_mov_b32 v8, s2 :: v_dual_mov_b32 v9, s3
	s_sleep 1
	global_store_b64 v[12:13], v[10:11], off
	global_wb scope:SCOPE_SYS
	s_wait_storecnt 0x0
	s_wait_xcnt 0x0
	global_atomic_cmpswap_b64 v[8:9], v3, v[8:11], s[4:5] offset:32 th:TH_ATOMIC_RETURN scope:SCOPE_SYS
	s_wait_loadcnt 0x0
	v_cmp_eq_u64_e32 vcc_lo, v[8:9], v[10:11]
	v_mov_b64_e32 v[10:11], v[8:9]
	s_or_b32 s7, vcc_lo, s7
	s_delay_alu instid0(SALU_CYCLE_1)
	s_and_not1_b32 exec_lo, exec_lo, s7
	s_cbranch_execnz .LBB0_622
.LBB0_623:
	s_or_b32 exec_lo, exec_lo, s6
	v_mov_b32_e32 v11, 0
	s_mov_b32 s7, exec_lo
	s_mov_b32 s6, exec_lo
	v_mbcnt_lo_u32_b32 v3, s7, 0
	global_load_b64 v[8:9], v11, s[4:5] offset:16
	s_wait_xcnt 0x0
	v_cmpx_eq_u32_e32 0, v3
	s_cbranch_execz .LBB0_625
; %bb.624:
	s_bcnt1_i32_b32 s7, s7
	s_delay_alu instid0(SALU_CYCLE_1)
	v_mov_b32_e32 v10, s7
	global_wb scope:SCOPE_SYS
	s_wait_loadcnt 0x0
	s_wait_storecnt 0x0
	global_atomic_add_u64 v[8:9], v[10:11], off offset:8 scope:SCOPE_SYS
.LBB0_625:
	s_wait_xcnt 0x0
	s_or_b32 exec_lo, exec_lo, s6
	s_wait_loadcnt 0x0
	global_load_b64 v[10:11], v[8:9], off offset:16
	s_wait_loadcnt 0x0
	v_cmp_eq_u64_e32 vcc_lo, 0, v[10:11]
	s_cbranch_vccnz .LBB0_627
; %bb.626:
	global_load_b32 v8, v[8:9], off offset:24
	s_wait_xcnt 0x0
	v_mov_b32_e32 v9, 0
	s_wait_loadcnt 0x0
	v_readfirstlane_b32 s6, v8
	global_wb scope:SCOPE_SYS
	s_wait_storecnt 0x0
	global_store_b64 v[10:11], v[8:9], off scope:SCOPE_SYS
	s_and_b32 m0, s6, 0xffffff
	s_sendmsg sendmsg(MSG_INTERRUPT)
.LBB0_627:
	s_wait_xcnt 0x0
	s_or_b32 exec_lo, exec_lo, s1
	v_add_nc_u64_e32 v[4:5], v[4:5], v[34:35]
	s_branch .LBB0_631
.LBB0_628:                              ;   in Loop: Header=BB0_631 Depth=1
	s_wait_xcnt 0x0
	s_or_b32 exec_lo, exec_lo, s1
	s_delay_alu instid0(VALU_DEP_1)
	v_readfirstlane_b32 s1, v3
	s_cmp_eq_u32 s1, 0
	s_cbranch_scc1 .LBB0_630
; %bb.629:                              ;   in Loop: Header=BB0_631 Depth=1
	s_sleep 1
	s_cbranch_execnz .LBB0_631
	s_branch .LBB0_633
.LBB0_630:
	s_branch .LBB0_633
.LBB0_631:                              ; =>This Inner Loop Header: Depth=1
	v_mov_b32_e32 v3, 1
	s_and_saveexec_b32 s1, s0
	s_cbranch_execz .LBB0_628
; %bb.632:                              ;   in Loop: Header=BB0_631 Depth=1
	global_load_b32 v3, v[0:1], off offset:20 scope:SCOPE_SYS
	s_wait_loadcnt 0x0
	global_inv scope:SCOPE_SYS
	v_and_b32_e32 v3, 1, v3
	s_branch .LBB0_628
.LBB0_633:
	global_load_b64 v[8:9], v[4:5], off
	s_wait_xcnt 0x0
	s_and_saveexec_b32 s6, s0
	s_cbranch_execz .LBB0_637
; %bb.634:
	v_mov_b32_e32 v3, 0
	s_clause 0x2
	global_load_b64 v[0:1], v3, s[4:5] offset:40
	global_load_b64 v[14:15], v3, s[4:5] offset:24 scope:SCOPE_SYS
	global_load_b64 v[4:5], v3, s[4:5]
	s_wait_loadcnt 0x2
	v_readfirstlane_b32 s8, v0
	v_readfirstlane_b32 s9, v1
	s_add_nc_u64 s[0:1], s[8:9], 1
	s_delay_alu instid0(SALU_CYCLE_1) | instskip(NEXT) | instid1(SALU_CYCLE_1)
	s_add_nc_u64 s[2:3], s[0:1], s[2:3]
	s_cmp_eq_u64 s[2:3], 0
	s_cselect_b32 s1, s1, s3
	s_cselect_b32 s0, s0, s2
	v_mov_b32_e32 v13, s1
	s_and_b64 s[2:3], s[0:1], s[8:9]
	v_mov_b32_e32 v12, s0
	s_mul_u64 s[2:3], s[2:3], 24
	s_wait_loadcnt 0x0
	v_add_nc_u64_e32 v[0:1], s[2:3], v[4:5]
	global_store_b64 v[0:1], v[14:15], off
	global_wb scope:SCOPE_SYS
	s_wait_storecnt 0x0
	s_wait_xcnt 0x0
	global_atomic_cmpswap_b64 v[12:13], v3, v[12:15], s[4:5] offset:24 th:TH_ATOMIC_RETURN scope:SCOPE_SYS
	s_wait_loadcnt 0x0
	v_cmp_ne_u64_e32 vcc_lo, v[12:13], v[14:15]
	s_and_b32 exec_lo, exec_lo, vcc_lo
	s_cbranch_execz .LBB0_637
; %bb.635:
	s_mov_b32 s2, 0
.LBB0_636:                              ; =>This Inner Loop Header: Depth=1
	v_dual_mov_b32 v10, s0 :: v_dual_mov_b32 v11, s1
	s_sleep 1
	global_store_b64 v[0:1], v[12:13], off
	global_wb scope:SCOPE_SYS
	s_wait_storecnt 0x0
	s_wait_xcnt 0x0
	global_atomic_cmpswap_b64 v[4:5], v3, v[10:13], s[4:5] offset:24 th:TH_ATOMIC_RETURN scope:SCOPE_SYS
	s_wait_loadcnt 0x0
	v_cmp_eq_u64_e32 vcc_lo, v[4:5], v[12:13]
	v_mov_b64_e32 v[12:13], v[4:5]
	s_or_b32 s2, vcc_lo, s2
	s_delay_alu instid0(SALU_CYCLE_1)
	s_and_not1_b32 exec_lo, exec_lo, s2
	s_cbranch_execnz .LBB0_636
.LBB0_637:
	s_or_b32 exec_lo, exec_lo, s6
	v_readfirstlane_b32 s0, v38
	v_mov_b64_e32 v[0:1], 0
	s_delay_alu instid0(VALU_DEP_2)
	v_cmp_eq_u32_e64 s0, s0, v38
	s_and_saveexec_b32 s1, s0
	s_cbranch_execz .LBB0_643
; %bb.638:
	v_mov_b32_e32 v3, 0
	s_mov_b32 s2, exec_lo
	global_load_b64 v[12:13], v3, s[4:5] offset:24 scope:SCOPE_SYS
	s_wait_loadcnt 0x0
	global_inv scope:SCOPE_SYS
	s_clause 0x1
	global_load_b64 v[0:1], v3, s[4:5] offset:40
	global_load_b64 v[4:5], v3, s[4:5]
	s_wait_loadcnt 0x1
	v_and_b32_e32 v0, v0, v12
	v_and_b32_e32 v1, v1, v13
	s_delay_alu instid0(VALU_DEP_1) | instskip(SKIP_1) | instid1(VALU_DEP_1)
	v_mul_u64_e32 v[0:1], 24, v[0:1]
	s_wait_loadcnt 0x0
	v_add_nc_u64_e32 v[0:1], v[4:5], v[0:1]
	global_load_b64 v[10:11], v[0:1], off scope:SCOPE_SYS
	s_wait_xcnt 0x0
	s_wait_loadcnt 0x0
	global_atomic_cmpswap_b64 v[0:1], v3, v[10:13], s[4:5] offset:24 th:TH_ATOMIC_RETURN scope:SCOPE_SYS
	s_wait_loadcnt 0x0
	global_inv scope:SCOPE_SYS
	s_wait_xcnt 0x0
	v_cmpx_ne_u64_e64 v[0:1], v[12:13]
	s_cbranch_execz .LBB0_642
; %bb.639:
	s_mov_b32 s3, 0
.LBB0_640:                              ; =>This Inner Loop Header: Depth=1
	s_sleep 1
	s_clause 0x1
	global_load_b64 v[4:5], v3, s[4:5] offset:40
	global_load_b64 v[10:11], v3, s[4:5]
	v_mov_b64_e32 v[12:13], v[0:1]
	s_wait_loadcnt 0x1
	s_delay_alu instid0(VALU_DEP_1) | instskip(NEXT) | instid1(VALU_DEP_2)
	v_and_b32_e32 v0, v4, v12
	v_and_b32_e32 v4, v5, v13
	s_wait_loadcnt 0x0
	s_delay_alu instid0(VALU_DEP_2) | instskip(NEXT) | instid1(VALU_DEP_1)
	v_mad_nc_u64_u32 v[0:1], v0, 24, v[10:11]
	v_mad_u32 v1, v4, 24, v1
	global_load_b64 v[10:11], v[0:1], off scope:SCOPE_SYS
	s_wait_xcnt 0x0
	s_wait_loadcnt 0x0
	global_atomic_cmpswap_b64 v[0:1], v3, v[10:13], s[4:5] offset:24 th:TH_ATOMIC_RETURN scope:SCOPE_SYS
	s_wait_loadcnt 0x0
	global_inv scope:SCOPE_SYS
	v_cmp_eq_u64_e32 vcc_lo, v[0:1], v[12:13]
	s_or_b32 s3, vcc_lo, s3
	s_wait_xcnt 0x0
	s_and_not1_b32 exec_lo, exec_lo, s3
	s_cbranch_execnz .LBB0_640
; %bb.641:
	s_or_b32 exec_lo, exec_lo, s3
.LBB0_642:
	s_delay_alu instid0(SALU_CYCLE_1)
	s_or_b32 exec_lo, exec_lo, s2
.LBB0_643:
	s_delay_alu instid0(SALU_CYCLE_1)
	s_or_b32 exec_lo, exec_lo, s1
	v_readfirstlane_b32 s2, v0
	v_mov_b32_e32 v35, 0
	v_readfirstlane_b32 s3, v1
	s_mov_b32 s1, exec_lo
	s_clause 0x1
	global_load_b64 v[4:5], v35, s[4:5] offset:40
	global_load_b128 v[12:15], v35, s[4:5]
	s_wait_loadcnt 0x1
	v_and_b32_e32 v4, s2, v4
	v_and_b32_e32 v5, s3, v5
	s_delay_alu instid0(VALU_DEP_1) | instskip(SKIP_1) | instid1(VALU_DEP_1)
	v_mul_u64_e32 v[0:1], 24, v[4:5]
	s_wait_loadcnt 0x0
	v_add_nc_u64_e32 v[0:1], v[12:13], v[0:1]
	s_wait_xcnt 0x0
	s_and_saveexec_b32 s6, s0
	s_cbranch_execz .LBB0_645
; %bb.644:
	v_mov_b64_e32 v[18:19], 0x100000002
	v_dual_mov_b32 v16, s1 :: v_dual_mov_b32 v17, v35
	global_store_b128 v[0:1], v[16:19], off offset:8
.LBB0_645:
	s_wait_xcnt 0x0
	s_or_b32 exec_lo, exec_lo, s6
	v_lshlrev_b64_e32 v[4:5], 12, v[4:5]
	s_mov_b32 s8, 0
	v_and_or_b32 v8, 0xffffff1f, v8, 32
	s_mov_b32 s10, s8
	s_mov_b32 s11, s8
	;; [unrolled: 1-line block ×3, first 2 shown]
	v_dual_mov_b32 v10, s19 :: v_dual_mov_b32 v11, v35
	v_add_nc_u64_e32 v[4:5], v[14:15], v[4:5]
	v_mov_b64_e32 v[16:17], s[10:11]
	v_mov_b64_e32 v[14:15], s[8:9]
	s_delay_alu instid0(VALU_DEP_3) | instskip(NEXT) | instid1(VALU_DEP_4)
	v_readfirstlane_b32 s6, v4
	v_readfirstlane_b32 s7, v5
	s_clause 0x3
	global_store_b128 v34, v[8:11], s[6:7]
	global_store_b128 v34, v[14:17], s[6:7] offset:16
	global_store_b128 v34, v[14:17], s[6:7] offset:32
	;; [unrolled: 1-line block ×3, first 2 shown]
	s_wait_xcnt 0x0
	s_and_saveexec_b32 s1, s0
	s_cbranch_execz .LBB0_653
; %bb.646:
	v_dual_mov_b32 v3, 0 :: v_dual_mov_b32 v15, s3
	s_mov_b32 s6, exec_lo
	s_clause 0x1
	global_load_b64 v[16:17], v3, s[4:5] offset:32 scope:SCOPE_SYS
	global_load_b64 v[8:9], v3, s[4:5] offset:40
	s_wait_loadcnt 0x0
	v_dual_mov_b32 v14, s2 :: v_dual_bitop2_b32 v9, s3, v9 bitop3:0x40
	v_and_b32_e32 v8, s2, v8
	s_delay_alu instid0(VALU_DEP_1) | instskip(NEXT) | instid1(VALU_DEP_1)
	v_mul_u64_e32 v[8:9], 24, v[8:9]
	v_add_nc_u64_e32 v[12:13], v[12:13], v[8:9]
	global_store_b64 v[12:13], v[16:17], off
	global_wb scope:SCOPE_SYS
	s_wait_storecnt 0x0
	s_wait_xcnt 0x0
	global_atomic_cmpswap_b64 v[10:11], v3, v[14:17], s[4:5] offset:32 th:TH_ATOMIC_RETURN scope:SCOPE_SYS
	s_wait_loadcnt 0x0
	v_cmpx_ne_u64_e64 v[10:11], v[16:17]
	s_cbranch_execz .LBB0_649
; %bb.647:
	s_mov_b32 s7, 0
.LBB0_648:                              ; =>This Inner Loop Header: Depth=1
	v_dual_mov_b32 v8, s2 :: v_dual_mov_b32 v9, s3
	s_sleep 1
	global_store_b64 v[12:13], v[10:11], off
	global_wb scope:SCOPE_SYS
	s_wait_storecnt 0x0
	s_wait_xcnt 0x0
	global_atomic_cmpswap_b64 v[8:9], v3, v[8:11], s[4:5] offset:32 th:TH_ATOMIC_RETURN scope:SCOPE_SYS
	s_wait_loadcnt 0x0
	v_cmp_eq_u64_e32 vcc_lo, v[8:9], v[10:11]
	v_mov_b64_e32 v[10:11], v[8:9]
	s_or_b32 s7, vcc_lo, s7
	s_delay_alu instid0(SALU_CYCLE_1)
	s_and_not1_b32 exec_lo, exec_lo, s7
	s_cbranch_execnz .LBB0_648
.LBB0_649:
	s_or_b32 exec_lo, exec_lo, s6
	v_mov_b32_e32 v11, 0
	s_mov_b32 s7, exec_lo
	s_mov_b32 s6, exec_lo
	v_mbcnt_lo_u32_b32 v3, s7, 0
	global_load_b64 v[8:9], v11, s[4:5] offset:16
	s_wait_xcnt 0x0
	v_cmpx_eq_u32_e32 0, v3
	s_cbranch_execz .LBB0_651
; %bb.650:
	s_bcnt1_i32_b32 s7, s7
	s_delay_alu instid0(SALU_CYCLE_1)
	v_mov_b32_e32 v10, s7
	global_wb scope:SCOPE_SYS
	s_wait_loadcnt 0x0
	s_wait_storecnt 0x0
	global_atomic_add_u64 v[8:9], v[10:11], off offset:8 scope:SCOPE_SYS
.LBB0_651:
	s_wait_xcnt 0x0
	s_or_b32 exec_lo, exec_lo, s6
	s_wait_loadcnt 0x0
	global_load_b64 v[10:11], v[8:9], off offset:16
	s_wait_loadcnt 0x0
	v_cmp_eq_u64_e32 vcc_lo, 0, v[10:11]
	s_cbranch_vccnz .LBB0_653
; %bb.652:
	global_load_b32 v8, v[8:9], off offset:24
	s_wait_xcnt 0x0
	v_mov_b32_e32 v9, 0
	s_wait_loadcnt 0x0
	v_readfirstlane_b32 s6, v8
	global_wb scope:SCOPE_SYS
	s_wait_storecnt 0x0
	global_store_b64 v[10:11], v[8:9], off scope:SCOPE_SYS
	s_and_b32 m0, s6, 0xffffff
	s_sendmsg sendmsg(MSG_INTERRUPT)
.LBB0_653:
	s_wait_xcnt 0x0
	s_or_b32 exec_lo, exec_lo, s1
	v_add_nc_u64_e32 v[4:5], v[4:5], v[34:35]
	s_branch .LBB0_657
.LBB0_654:                              ;   in Loop: Header=BB0_657 Depth=1
	s_wait_xcnt 0x0
	s_or_b32 exec_lo, exec_lo, s1
	s_delay_alu instid0(VALU_DEP_1)
	v_readfirstlane_b32 s1, v3
	s_cmp_eq_u32 s1, 0
	s_cbranch_scc1 .LBB0_656
; %bb.655:                              ;   in Loop: Header=BB0_657 Depth=1
	s_sleep 1
	s_cbranch_execnz .LBB0_657
	s_branch .LBB0_659
.LBB0_656:
	s_branch .LBB0_659
.LBB0_657:                              ; =>This Inner Loop Header: Depth=1
	v_mov_b32_e32 v3, 1
	s_and_saveexec_b32 s1, s0
	s_cbranch_execz .LBB0_654
; %bb.658:                              ;   in Loop: Header=BB0_657 Depth=1
	global_load_b32 v3, v[0:1], off offset:20 scope:SCOPE_SYS
	s_wait_loadcnt 0x0
	global_inv scope:SCOPE_SYS
	v_and_b32_e32 v3, 1, v3
	s_branch .LBB0_654
.LBB0_659:
	global_load_b64 v[4:5], v[4:5], off
	s_wait_xcnt 0x0
	s_and_saveexec_b32 s6, s0
	s_cbranch_execz .LBB0_663
; %bb.660:
	v_mov_b32_e32 v3, 0
	s_clause 0x2
	global_load_b64 v[0:1], v3, s[4:5] offset:40
	global_load_b64 v[12:13], v3, s[4:5] offset:24 scope:SCOPE_SYS
	global_load_b64 v[8:9], v3, s[4:5]
	s_wait_loadcnt 0x2
	v_readfirstlane_b32 s8, v0
	v_readfirstlane_b32 s9, v1
	s_add_nc_u64 s[0:1], s[8:9], 1
	s_delay_alu instid0(SALU_CYCLE_1) | instskip(NEXT) | instid1(SALU_CYCLE_1)
	s_add_nc_u64 s[2:3], s[0:1], s[2:3]
	s_cmp_eq_u64 s[2:3], 0
	s_cselect_b32 s1, s1, s3
	s_cselect_b32 s0, s0, s2
	v_mov_b32_e32 v11, s1
	s_and_b64 s[2:3], s[0:1], s[8:9]
	v_mov_b32_e32 v10, s0
	s_mul_u64 s[2:3], s[2:3], 24
	s_wait_loadcnt 0x0
	v_add_nc_u64_e32 v[0:1], s[2:3], v[8:9]
	global_store_b64 v[0:1], v[12:13], off
	global_wb scope:SCOPE_SYS
	s_wait_storecnt 0x0
	s_wait_xcnt 0x0
	global_atomic_cmpswap_b64 v[10:11], v3, v[10:13], s[4:5] offset:24 th:TH_ATOMIC_RETURN scope:SCOPE_SYS
	s_wait_loadcnt 0x0
	v_cmp_ne_u64_e32 vcc_lo, v[10:11], v[12:13]
	s_and_b32 exec_lo, exec_lo, vcc_lo
	s_cbranch_execz .LBB0_663
; %bb.661:
	s_mov_b32 s2, 0
.LBB0_662:                              ; =>This Inner Loop Header: Depth=1
	v_dual_mov_b32 v8, s0 :: v_dual_mov_b32 v9, s1
	s_sleep 1
	global_store_b64 v[0:1], v[10:11], off
	global_wb scope:SCOPE_SYS
	s_wait_storecnt 0x0
	s_wait_xcnt 0x0
	global_atomic_cmpswap_b64 v[8:9], v3, v[8:11], s[4:5] offset:24 th:TH_ATOMIC_RETURN scope:SCOPE_SYS
	s_wait_loadcnt 0x0
	v_cmp_eq_u64_e32 vcc_lo, v[8:9], v[10:11]
	v_mov_b64_e32 v[10:11], v[8:9]
	s_or_b32 s2, vcc_lo, s2
	s_delay_alu instid0(SALU_CYCLE_1)
	s_and_not1_b32 exec_lo, exec_lo, s2
	s_cbranch_execnz .LBB0_662
.LBB0_663:
	s_or_b32 exec_lo, exec_lo, s6
	v_readfirstlane_b32 s0, v38
	v_mov_b64_e32 v[0:1], 0
	s_delay_alu instid0(VALU_DEP_2)
	v_cmp_eq_u32_e64 s0, s0, v38
	s_and_saveexec_b32 s1, s0
	s_cbranch_execz .LBB0_669
; %bb.664:
	v_mov_b32_e32 v3, 0
	s_mov_b32 s2, exec_lo
	global_load_b64 v[10:11], v3, s[4:5] offset:24 scope:SCOPE_SYS
	s_wait_loadcnt 0x0
	global_inv scope:SCOPE_SYS
	s_clause 0x1
	global_load_b64 v[0:1], v3, s[4:5] offset:40
	global_load_b64 v[8:9], v3, s[4:5]
	s_wait_loadcnt 0x1
	v_and_b32_e32 v0, v0, v10
	v_and_b32_e32 v1, v1, v11
	s_delay_alu instid0(VALU_DEP_1) | instskip(SKIP_1) | instid1(VALU_DEP_1)
	v_mul_u64_e32 v[0:1], 24, v[0:1]
	s_wait_loadcnt 0x0
	v_add_nc_u64_e32 v[0:1], v[8:9], v[0:1]
	global_load_b64 v[8:9], v[0:1], off scope:SCOPE_SYS
	s_wait_xcnt 0x0
	s_wait_loadcnt 0x0
	global_atomic_cmpswap_b64 v[0:1], v3, v[8:11], s[4:5] offset:24 th:TH_ATOMIC_RETURN scope:SCOPE_SYS
	s_wait_loadcnt 0x0
	global_inv scope:SCOPE_SYS
	s_wait_xcnt 0x0
	v_cmpx_ne_u64_e64 v[0:1], v[10:11]
	s_cbranch_execz .LBB0_668
; %bb.665:
	s_mov_b32 s3, 0
.LBB0_666:                              ; =>This Inner Loop Header: Depth=1
	s_sleep 1
	s_clause 0x1
	global_load_b64 v[8:9], v3, s[4:5] offset:40
	global_load_b64 v[12:13], v3, s[4:5]
	v_mov_b64_e32 v[10:11], v[0:1]
	s_wait_loadcnt 0x1
	s_delay_alu instid0(VALU_DEP_1) | instskip(NEXT) | instid1(VALU_DEP_2)
	v_and_b32_e32 v0, v8, v10
	v_and_b32_e32 v7, v9, v11
	s_wait_loadcnt 0x0
	s_delay_alu instid0(VALU_DEP_2) | instskip(NEXT) | instid1(VALU_DEP_1)
	v_mad_nc_u64_u32 v[0:1], v0, 24, v[12:13]
	v_mad_u32 v1, v7, 24, v1
	global_load_b64 v[8:9], v[0:1], off scope:SCOPE_SYS
	s_wait_xcnt 0x0
	s_wait_loadcnt 0x0
	global_atomic_cmpswap_b64 v[0:1], v3, v[8:11], s[4:5] offset:24 th:TH_ATOMIC_RETURN scope:SCOPE_SYS
	s_wait_loadcnt 0x0
	global_inv scope:SCOPE_SYS
	v_cmp_eq_u64_e32 vcc_lo, v[0:1], v[10:11]
	s_or_b32 s3, vcc_lo, s3
	s_wait_xcnt 0x0
	s_and_not1_b32 exec_lo, exec_lo, s3
	s_cbranch_execnz .LBB0_666
; %bb.667:
	s_or_b32 exec_lo, exec_lo, s3
.LBB0_668:
	s_delay_alu instid0(SALU_CYCLE_1)
	s_or_b32 exec_lo, exec_lo, s2
.LBB0_669:
	s_delay_alu instid0(SALU_CYCLE_1)
	s_or_b32 exec_lo, exec_lo, s1
	v_readfirstlane_b32 s2, v0
	v_mov_b32_e32 v35, 0
	v_readfirstlane_b32 s3, v1
	s_mov_b32 s1, exec_lo
	s_clause 0x1
	global_load_b64 v[12:13], v35, s[4:5] offset:40
	global_load_b128 v[8:11], v35, s[4:5]
	s_wait_loadcnt 0x1
	v_and_b32_e32 v12, s2, v12
	v_and_b32_e32 v13, s3, v13
	s_delay_alu instid0(VALU_DEP_1) | instskip(SKIP_1) | instid1(VALU_DEP_1)
	v_mul_u64_e32 v[0:1], 24, v[12:13]
	s_wait_loadcnt 0x0
	v_add_nc_u64_e32 v[0:1], v[8:9], v[0:1]
	s_wait_xcnt 0x0
	s_and_saveexec_b32 s6, s0
	s_cbranch_execz .LBB0_671
; %bb.670:
	v_mov_b64_e32 v[16:17], 0x100000002
	v_dual_mov_b32 v14, s1 :: v_dual_mov_b32 v15, v35
	global_store_b128 v[0:1], v[14:17], off offset:8
.LBB0_671:
	s_wait_xcnt 0x0
	s_or_b32 exec_lo, exec_lo, s6
	v_lshlrev_b64_e32 v[12:13], 12, v[12:13]
	s_mov_b32 s8, 0
	v_and_or_b32 v4, 0xffffff1f, v4, 32
	s_mov_b32 s10, s8
	s_mov_b32 s11, s8
	;; [unrolled: 1-line block ×3, first 2 shown]
	v_mov_b32_e32 v7, v35
	v_add_nc_u64_e32 v[10:11], v[10:11], v[12:13]
	v_mov_b64_e32 v[14:15], s[10:11]
	v_mov_b64_e32 v[12:13], s[8:9]
	s_delay_alu instid0(VALU_DEP_3) | instskip(NEXT) | instid1(VALU_DEP_4)
	v_readfirstlane_b32 s6, v10
	v_readfirstlane_b32 s7, v11
	s_wait_dscnt 0x0
	s_clause 0x3
	global_store_b128 v34, v[4:7], s[6:7]
	global_store_b128 v34, v[12:15], s[6:7] offset:16
	global_store_b128 v34, v[12:15], s[6:7] offset:32
	;; [unrolled: 1-line block ×3, first 2 shown]
	s_wait_xcnt 0x0
	s_and_saveexec_b32 s1, s0
	s_cbranch_execz .LBB0_679
; %bb.672:
	v_dual_mov_b32 v3, 0 :: v_dual_mov_b32 v13, s3
	s_mov_b32 s6, exec_lo
	s_clause 0x1
	global_load_b64 v[14:15], v3, s[4:5] offset:32 scope:SCOPE_SYS
	global_load_b64 v[4:5], v3, s[4:5] offset:40
	s_wait_loadcnt 0x0
	v_dual_mov_b32 v12, s2 :: v_dual_bitop2_b32 v5, s3, v5 bitop3:0x40
	v_and_b32_e32 v4, s2, v4
	s_delay_alu instid0(VALU_DEP_1) | instskip(NEXT) | instid1(VALU_DEP_1)
	v_mul_u64_e32 v[4:5], 24, v[4:5]
	v_add_nc_u64_e32 v[8:9], v[8:9], v[4:5]
	global_store_b64 v[8:9], v[14:15], off
	global_wb scope:SCOPE_SYS
	s_wait_storecnt 0x0
	s_wait_xcnt 0x0
	global_atomic_cmpswap_b64 v[6:7], v3, v[12:15], s[4:5] offset:32 th:TH_ATOMIC_RETURN scope:SCOPE_SYS
	s_wait_loadcnt 0x0
	v_cmpx_ne_u64_e64 v[6:7], v[14:15]
	s_cbranch_execz .LBB0_675
; %bb.673:
	s_mov_b32 s7, 0
.LBB0_674:                              ; =>This Inner Loop Header: Depth=1
	v_dual_mov_b32 v4, s2 :: v_dual_mov_b32 v5, s3
	s_sleep 1
	global_store_b64 v[8:9], v[6:7], off
	global_wb scope:SCOPE_SYS
	s_wait_storecnt 0x0
	s_wait_xcnt 0x0
	global_atomic_cmpswap_b64 v[4:5], v3, v[4:7], s[4:5] offset:32 th:TH_ATOMIC_RETURN scope:SCOPE_SYS
	s_wait_loadcnt 0x0
	v_cmp_eq_u64_e32 vcc_lo, v[4:5], v[6:7]
	v_mov_b64_e32 v[6:7], v[4:5]
	s_or_b32 s7, vcc_lo, s7
	s_delay_alu instid0(SALU_CYCLE_1)
	s_and_not1_b32 exec_lo, exec_lo, s7
	s_cbranch_execnz .LBB0_674
.LBB0_675:
	s_or_b32 exec_lo, exec_lo, s6
	v_mov_b32_e32 v7, 0
	s_mov_b32 s7, exec_lo
	s_mov_b32 s6, exec_lo
	v_mbcnt_lo_u32_b32 v3, s7, 0
	global_load_b64 v[4:5], v7, s[4:5] offset:16
	s_wait_xcnt 0x0
	v_cmpx_eq_u32_e32 0, v3
	s_cbranch_execz .LBB0_677
; %bb.676:
	s_bcnt1_i32_b32 s7, s7
	s_delay_alu instid0(SALU_CYCLE_1)
	v_mov_b32_e32 v6, s7
	global_wb scope:SCOPE_SYS
	s_wait_loadcnt 0x0
	s_wait_storecnt 0x0
	global_atomic_add_u64 v[4:5], v[6:7], off offset:8 scope:SCOPE_SYS
.LBB0_677:
	s_wait_xcnt 0x0
	s_or_b32 exec_lo, exec_lo, s6
	s_wait_loadcnt 0x0
	global_load_b64 v[6:7], v[4:5], off offset:16
	s_wait_loadcnt 0x0
	v_cmp_eq_u64_e32 vcc_lo, 0, v[6:7]
	s_cbranch_vccnz .LBB0_679
; %bb.678:
	global_load_b32 v4, v[4:5], off offset:24
	s_wait_xcnt 0x0
	v_mov_b32_e32 v5, 0
	s_wait_loadcnt 0x0
	v_readfirstlane_b32 s6, v4
	global_wb scope:SCOPE_SYS
	s_wait_storecnt 0x0
	global_store_b64 v[6:7], v[4:5], off scope:SCOPE_SYS
	s_and_b32 m0, s6, 0xffffff
	s_sendmsg sendmsg(MSG_INTERRUPT)
.LBB0_679:
	s_wait_xcnt 0x0
	s_or_b32 exec_lo, exec_lo, s1
	v_add_nc_u64_e32 v[4:5], v[10:11], v[34:35]
	s_branch .LBB0_683
.LBB0_680:                              ;   in Loop: Header=BB0_683 Depth=1
	s_wait_xcnt 0x0
	s_or_b32 exec_lo, exec_lo, s1
	s_delay_alu instid0(VALU_DEP_1)
	v_readfirstlane_b32 s1, v3
	s_cmp_eq_u32 s1, 0
	s_cbranch_scc1 .LBB0_682
; %bb.681:                              ;   in Loop: Header=BB0_683 Depth=1
	s_sleep 1
	s_cbranch_execnz .LBB0_683
	s_branch .LBB0_685
.LBB0_682:
	s_branch .LBB0_685
.LBB0_683:                              ; =>This Inner Loop Header: Depth=1
	v_mov_b32_e32 v3, 1
	s_and_saveexec_b32 s1, s0
	s_cbranch_execz .LBB0_680
; %bb.684:                              ;   in Loop: Header=BB0_683 Depth=1
	global_load_b32 v3, v[0:1], off offset:20 scope:SCOPE_SYS
	s_wait_loadcnt 0x0
	global_inv scope:SCOPE_SYS
	v_and_b32_e32 v3, 1, v3
	s_branch .LBB0_680
.LBB0_685:
	global_load_b64 v[0:1], v[4:5], off
	s_wait_xcnt 0x0
	s_and_saveexec_b32 s6, s0
	s_cbranch_execz .LBB0_689
; %bb.686:
	v_mov_b32_e32 v3, 0
	s_clause 0x2
	global_load_b64 v[4:5], v3, s[4:5] offset:40
	global_load_b64 v[12:13], v3, s[4:5] offset:24 scope:SCOPE_SYS
	global_load_b64 v[6:7], v3, s[4:5]
	s_wait_loadcnt 0x2
	v_readfirstlane_b32 s8, v4
	v_readfirstlane_b32 s9, v5
	s_add_nc_u64 s[0:1], s[8:9], 1
	s_delay_alu instid0(SALU_CYCLE_1) | instskip(NEXT) | instid1(SALU_CYCLE_1)
	s_add_nc_u64 s[2:3], s[0:1], s[2:3]
	s_cmp_eq_u64 s[2:3], 0
	s_cselect_b32 s1, s1, s3
	s_cselect_b32 s0, s0, s2
	v_mov_b32_e32 v11, s1
	s_and_b64 s[2:3], s[0:1], s[8:9]
	v_mov_b32_e32 v10, s0
	s_mul_u64 s[2:3], s[2:3], 24
	s_wait_loadcnt 0x0
	v_add_nc_u64_e32 v[8:9], s[2:3], v[6:7]
	global_store_b64 v[8:9], v[12:13], off
	global_wb scope:SCOPE_SYS
	s_wait_storecnt 0x0
	s_wait_xcnt 0x0
	global_atomic_cmpswap_b64 v[6:7], v3, v[10:13], s[4:5] offset:24 th:TH_ATOMIC_RETURN scope:SCOPE_SYS
	s_wait_loadcnt 0x0
	v_cmp_ne_u64_e32 vcc_lo, v[6:7], v[12:13]
	s_and_b32 exec_lo, exec_lo, vcc_lo
	s_cbranch_execz .LBB0_689
; %bb.687:
	s_mov_b32 s2, 0
.LBB0_688:                              ; =>This Inner Loop Header: Depth=1
	v_dual_mov_b32 v4, s0 :: v_dual_mov_b32 v5, s1
	s_sleep 1
	global_store_b64 v[8:9], v[6:7], off
	global_wb scope:SCOPE_SYS
	s_wait_storecnt 0x0
	s_wait_xcnt 0x0
	global_atomic_cmpswap_b64 v[4:5], v3, v[4:7], s[4:5] offset:24 th:TH_ATOMIC_RETURN scope:SCOPE_SYS
	s_wait_loadcnt 0x0
	v_cmp_eq_u64_e32 vcc_lo, v[4:5], v[6:7]
	v_mov_b64_e32 v[6:7], v[4:5]
	s_or_b32 s2, vcc_lo, s2
	s_delay_alu instid0(SALU_CYCLE_1)
	s_and_not1_b32 exec_lo, exec_lo, s2
	s_cbranch_execnz .LBB0_688
.LBB0_689:
	s_or_b32 exec_lo, exec_lo, s6
	v_readfirstlane_b32 s0, v38
	v_mov_b64_e32 v[8:9], 0
	s_delay_alu instid0(VALU_DEP_2)
	v_cmp_eq_u32_e64 s0, s0, v38
	s_and_saveexec_b32 s1, s0
	s_cbranch_execz .LBB0_695
; %bb.690:
	v_mov_b32_e32 v3, 0
	s_mov_b32 s2, exec_lo
	global_load_b64 v[6:7], v3, s[4:5] offset:24 scope:SCOPE_SYS
	s_wait_loadcnt 0x0
	global_inv scope:SCOPE_SYS
	s_clause 0x1
	global_load_b64 v[4:5], v3, s[4:5] offset:40
	global_load_b64 v[8:9], v3, s[4:5]
	s_wait_loadcnt 0x1
	v_and_b32_e32 v4, v4, v6
	v_and_b32_e32 v5, v5, v7
	s_delay_alu instid0(VALU_DEP_1) | instskip(SKIP_1) | instid1(VALU_DEP_1)
	v_mul_u64_e32 v[4:5], 24, v[4:5]
	s_wait_loadcnt 0x0
	v_add_nc_u64_e32 v[4:5], v[8:9], v[4:5]
	global_load_b64 v[4:5], v[4:5], off scope:SCOPE_SYS
	s_wait_xcnt 0x0
	s_wait_loadcnt 0x0
	global_atomic_cmpswap_b64 v[8:9], v3, v[4:7], s[4:5] offset:24 th:TH_ATOMIC_RETURN scope:SCOPE_SYS
	s_wait_loadcnt 0x0
	global_inv scope:SCOPE_SYS
	s_wait_xcnt 0x0
	v_cmpx_ne_u64_e64 v[8:9], v[6:7]
	s_cbranch_execz .LBB0_694
; %bb.691:
	s_mov_b32 s3, 0
.LBB0_692:                              ; =>This Inner Loop Header: Depth=1
	s_sleep 1
	s_clause 0x1
	global_load_b64 v[4:5], v3, s[4:5] offset:40
	global_load_b64 v[10:11], v3, s[4:5]
	v_mov_b64_e32 v[6:7], v[8:9]
	s_wait_loadcnt 0x1
	s_delay_alu instid0(VALU_DEP_1) | instskip(SKIP_1) | instid1(VALU_DEP_1)
	v_and_b32_e32 v4, v4, v6
	s_wait_loadcnt 0x0
	v_mad_nc_u64_u32 v[8:9], v4, 24, v[10:11]
	s_delay_alu instid0(VALU_DEP_3) | instskip(NEXT) | instid1(VALU_DEP_1)
	v_and_b32_e32 v4, v5, v7
	v_mad_u32 v9, v4, 24, v9
	global_load_b64 v[4:5], v[8:9], off scope:SCOPE_SYS
	s_wait_xcnt 0x0
	s_wait_loadcnt 0x0
	global_atomic_cmpswap_b64 v[8:9], v3, v[4:7], s[4:5] offset:24 th:TH_ATOMIC_RETURN scope:SCOPE_SYS
	s_wait_loadcnt 0x0
	global_inv scope:SCOPE_SYS
	v_cmp_eq_u64_e32 vcc_lo, v[8:9], v[6:7]
	s_or_b32 s3, vcc_lo, s3
	s_wait_xcnt 0x0
	s_and_not1_b32 exec_lo, exec_lo, s3
	s_cbranch_execnz .LBB0_692
; %bb.693:
	s_or_b32 exec_lo, exec_lo, s3
.LBB0_694:
	s_delay_alu instid0(SALU_CYCLE_1)
	s_or_b32 exec_lo, exec_lo, s2
.LBB0_695:
	s_delay_alu instid0(SALU_CYCLE_1)
	s_or_b32 exec_lo, exec_lo, s1
	v_readfirstlane_b32 s2, v8
	v_mov_b32_e32 v3, 0
	v_readfirstlane_b32 s3, v9
	s_mov_b32 s1, exec_lo
	s_clause 0x1
	global_load_b64 v[10:11], v3, s[4:5] offset:40
	global_load_b128 v[4:7], v3, s[4:5]
	s_wait_loadcnt 0x1
	v_and_b32_e32 v10, s2, v10
	v_and_b32_e32 v11, s3, v11
	s_delay_alu instid0(VALU_DEP_1) | instskip(SKIP_1) | instid1(VALU_DEP_1)
	v_mul_u64_e32 v[8:9], 24, v[10:11]
	s_wait_loadcnt 0x0
	v_add_nc_u64_e32 v[8:9], v[4:5], v[8:9]
	s_wait_xcnt 0x0
	s_and_saveexec_b32 s6, s0
	s_cbranch_execz .LBB0_697
; %bb.696:
	v_mov_b64_e32 v[14:15], 0x100000002
	v_dual_mov_b32 v12, s1 :: v_dual_mov_b32 v13, v3
	global_store_b128 v[8:9], v[12:15], off offset:8
.LBB0_697:
	s_wait_xcnt 0x0
	s_or_b32 exec_lo, exec_lo, s6
	v_lshlrev_b64_e32 v[10:11], 12, v[10:11]
	s_mov_b32 s8, 0
	v_and_or_b32 v0, 0xffffff1d, v0, 34
	s_mov_b32 s10, s8
	s_mov_b32 s11, s8
	;; [unrolled: 1-line block ×3, first 2 shown]
	s_delay_alu instid0(VALU_DEP_2) | instskip(SKIP_2) | instid1(VALU_DEP_3)
	v_add_nc_u64_e32 v[6:7], v[6:7], v[10:11]
	v_mov_b64_e32 v[12:13], s[10:11]
	v_mov_b64_e32 v[10:11], s[8:9]
	v_readfirstlane_b32 s6, v6
	s_delay_alu instid0(VALU_DEP_4)
	v_readfirstlane_b32 s7, v7
	s_clause 0x3
	global_store_b128 v34, v[0:3], s[6:7]
	global_store_b128 v34, v[10:13], s[6:7] offset:16
	global_store_b128 v34, v[10:13], s[6:7] offset:32
	;; [unrolled: 1-line block ×3, first 2 shown]
	s_wait_xcnt 0x0
	s_and_saveexec_b32 s1, s0
	s_cbranch_execz .LBB0_705
; %bb.698:
	v_dual_mov_b32 v6, 0 :: v_dual_mov_b32 v11, s3
	s_mov_b32 s6, exec_lo
	s_clause 0x1
	global_load_b64 v[12:13], v6, s[4:5] offset:32 scope:SCOPE_SYS
	global_load_b64 v[0:1], v6, s[4:5] offset:40
	s_wait_loadcnt 0x0
	v_dual_mov_b32 v10, s2 :: v_dual_bitop2_b32 v1, s3, v1 bitop3:0x40
	v_and_b32_e32 v0, s2, v0
	s_delay_alu instid0(VALU_DEP_1) | instskip(NEXT) | instid1(VALU_DEP_1)
	v_mul_u64_e32 v[0:1], 24, v[0:1]
	v_add_nc_u64_e32 v[4:5], v[4:5], v[0:1]
	global_store_b64 v[4:5], v[12:13], off
	global_wb scope:SCOPE_SYS
	s_wait_storecnt 0x0
	s_wait_xcnt 0x0
	global_atomic_cmpswap_b64 v[2:3], v6, v[10:13], s[4:5] offset:32 th:TH_ATOMIC_RETURN scope:SCOPE_SYS
	s_wait_loadcnt 0x0
	v_cmpx_ne_u64_e64 v[2:3], v[12:13]
	s_cbranch_execz .LBB0_701
; %bb.699:
	s_mov_b32 s7, 0
.LBB0_700:                              ; =>This Inner Loop Header: Depth=1
	v_dual_mov_b32 v0, s2 :: v_dual_mov_b32 v1, s3
	s_sleep 1
	global_store_b64 v[4:5], v[2:3], off
	global_wb scope:SCOPE_SYS
	s_wait_storecnt 0x0
	s_wait_xcnt 0x0
	global_atomic_cmpswap_b64 v[0:1], v6, v[0:3], s[4:5] offset:32 th:TH_ATOMIC_RETURN scope:SCOPE_SYS
	s_wait_loadcnt 0x0
	v_cmp_eq_u64_e32 vcc_lo, v[0:1], v[2:3]
	v_mov_b64_e32 v[2:3], v[0:1]
	s_or_b32 s7, vcc_lo, s7
	s_delay_alu instid0(SALU_CYCLE_1)
	s_and_not1_b32 exec_lo, exec_lo, s7
	s_cbranch_execnz .LBB0_700
.LBB0_701:
	s_or_b32 exec_lo, exec_lo, s6
	v_mov_b32_e32 v3, 0
	s_mov_b32 s7, exec_lo
	s_mov_b32 s6, exec_lo
	v_mbcnt_lo_u32_b32 v2, s7, 0
	global_load_b64 v[0:1], v3, s[4:5] offset:16
	s_wait_xcnt 0x0
	v_cmpx_eq_u32_e32 0, v2
	s_cbranch_execz .LBB0_703
; %bb.702:
	s_bcnt1_i32_b32 s7, s7
	s_delay_alu instid0(SALU_CYCLE_1)
	v_mov_b32_e32 v2, s7
	global_wb scope:SCOPE_SYS
	s_wait_loadcnt 0x0
	s_wait_storecnt 0x0
	global_atomic_add_u64 v[0:1], v[2:3], off offset:8 scope:SCOPE_SYS
.LBB0_703:
	s_wait_xcnt 0x0
	s_or_b32 exec_lo, exec_lo, s6
	s_wait_loadcnt 0x0
	global_load_b64 v[2:3], v[0:1], off offset:16
	s_wait_loadcnt 0x0
	v_cmp_eq_u64_e32 vcc_lo, 0, v[2:3]
	s_cbranch_vccnz .LBB0_705
; %bb.704:
	global_load_b32 v0, v[0:1], off offset:24
	s_wait_xcnt 0x0
	v_mov_b32_e32 v1, 0
	s_wait_loadcnt 0x0
	v_readfirstlane_b32 s6, v0
	global_wb scope:SCOPE_SYS
	s_wait_storecnt 0x0
	global_store_b64 v[2:3], v[0:1], off scope:SCOPE_SYS
	s_and_b32 m0, s6, 0xffffff
	s_sendmsg sendmsg(MSG_INTERRUPT)
.LBB0_705:
	s_wait_xcnt 0x0
	s_or_b32 exec_lo, exec_lo, s1
	s_branch .LBB0_709
.LBB0_706:                              ;   in Loop: Header=BB0_709 Depth=1
	s_wait_xcnt 0x0
	s_or_b32 exec_lo, exec_lo, s1
	s_delay_alu instid0(VALU_DEP_1)
	v_readfirstlane_b32 s1, v0
	s_cmp_eq_u32 s1, 0
	s_cbranch_scc1 .LBB0_708
; %bb.707:                              ;   in Loop: Header=BB0_709 Depth=1
	s_sleep 1
	s_cbranch_execnz .LBB0_709
	s_branch .LBB0_711
.LBB0_708:
	s_branch .LBB0_711
.LBB0_709:                              ; =>This Inner Loop Header: Depth=1
	v_mov_b32_e32 v0, 1
	s_and_saveexec_b32 s1, s0
	s_cbranch_execz .LBB0_706
; %bb.710:                              ;   in Loop: Header=BB0_709 Depth=1
	global_load_b32 v0, v[8:9], off offset:20 scope:SCOPE_SYS
	s_wait_loadcnt 0x0
	global_inv scope:SCOPE_SYS
	v_and_b32_e32 v0, 1, v0
	s_branch .LBB0_706
.LBB0_711:
	s_and_saveexec_b32 s1, s0
	s_cbranch_execz .LBB0_715
; %bb.712:
	v_mov_b32_e32 v6, 0
	s_clause 0x2
	global_load_b64 v[0:1], v6, s[4:5] offset:40
	global_load_b64 v[10:11], v6, s[4:5] offset:24 scope:SCOPE_SYS
	global_load_b64 v[2:3], v6, s[4:5]
	s_wait_loadcnt 0x2
	v_readfirstlane_b32 s6, v0
	v_readfirstlane_b32 s7, v1
	s_add_nc_u64 s[0:1], s[6:7], 1
	s_delay_alu instid0(SALU_CYCLE_1) | instskip(NEXT) | instid1(SALU_CYCLE_1)
	s_add_nc_u64 s[2:3], s[0:1], s[2:3]
	s_cmp_eq_u64 s[2:3], 0
	s_cselect_b32 s1, s1, s3
	s_cselect_b32 s0, s0, s2
	v_mov_b32_e32 v9, s1
	s_and_b64 s[2:3], s[0:1], s[6:7]
	v_mov_b32_e32 v8, s0
	s_mul_u64 s[2:3], s[2:3], 24
	s_wait_loadcnt 0x0
	v_add_nc_u64_e32 v[4:5], s[2:3], v[2:3]
	global_store_b64 v[4:5], v[10:11], off
	global_wb scope:SCOPE_SYS
	s_wait_storecnt 0x0
	s_wait_xcnt 0x0
	global_atomic_cmpswap_b64 v[2:3], v6, v[8:11], s[4:5] offset:24 th:TH_ATOMIC_RETURN scope:SCOPE_SYS
	s_wait_loadcnt 0x0
	v_cmp_ne_u64_e32 vcc_lo, v[2:3], v[10:11]
	s_and_b32 exec_lo, exec_lo, vcc_lo
	s_cbranch_execz .LBB0_715
; %bb.713:
	s_mov_b32 s2, 0
.LBB0_714:                              ; =>This Inner Loop Header: Depth=1
	v_dual_mov_b32 v0, s0 :: v_dual_mov_b32 v1, s1
	s_sleep 1
	global_store_b64 v[4:5], v[2:3], off
	global_wb scope:SCOPE_SYS
	s_wait_storecnt 0x0
	s_wait_xcnt 0x0
	global_atomic_cmpswap_b64 v[0:1], v6, v[0:3], s[4:5] offset:24 th:TH_ATOMIC_RETURN scope:SCOPE_SYS
	s_wait_loadcnt 0x0
	v_cmp_eq_u64_e32 vcc_lo, v[0:1], v[2:3]
	v_mov_b64_e32 v[2:3], v[0:1]
	s_or_b32 s2, vcc_lo, s2
	s_delay_alu instid0(SALU_CYCLE_1)
	s_and_not1_b32 exec_lo, exec_lo, s2
	s_cbranch_execnz .LBB0_714
.LBB0_715:
	s_endpgm
	.section	.rodata,"a",@progbits
	.p2align	6, 0x0
	.amdhsa_kernel _Z8kernel_aiPViiPi
		.amdhsa_group_segment_fixed_size 0
		.amdhsa_private_segment_fixed_size 0
		.amdhsa_kernarg_size 288
		.amdhsa_user_sgpr_count 2
		.amdhsa_user_sgpr_dispatch_ptr 0
		.amdhsa_user_sgpr_queue_ptr 0
		.amdhsa_user_sgpr_kernarg_segment_ptr 1
		.amdhsa_user_sgpr_dispatch_id 0
		.amdhsa_user_sgpr_kernarg_preload_length 0
		.amdhsa_user_sgpr_kernarg_preload_offset 0
		.amdhsa_user_sgpr_private_segment_size 0
		.amdhsa_wavefront_size32 1
		.amdhsa_uses_dynamic_stack 0
		.amdhsa_enable_private_segment 0
		.amdhsa_system_sgpr_workgroup_id_x 1
		.amdhsa_system_sgpr_workgroup_id_y 0
		.amdhsa_system_sgpr_workgroup_id_z 0
		.amdhsa_system_sgpr_workgroup_info 0
		.amdhsa_system_vgpr_workitem_id 0
		.amdhsa_next_free_vgpr 39
		.amdhsa_next_free_sgpr 26
		.amdhsa_named_barrier_count 0
		.amdhsa_reserve_vcc 1
		.amdhsa_float_round_mode_32 0
		.amdhsa_float_round_mode_16_64 0
		.amdhsa_float_denorm_mode_32 3
		.amdhsa_float_denorm_mode_16_64 3
		.amdhsa_fp16_overflow 0
		.amdhsa_memory_ordered 1
		.amdhsa_forward_progress 1
		.amdhsa_inst_pref_size 255
		.amdhsa_round_robin_scheduling 0
		.amdhsa_exception_fp_ieee_invalid_op 0
		.amdhsa_exception_fp_denorm_src 0
		.amdhsa_exception_fp_ieee_div_zero 0
		.amdhsa_exception_fp_ieee_overflow 0
		.amdhsa_exception_fp_ieee_underflow 0
		.amdhsa_exception_fp_ieee_inexact 0
		.amdhsa_exception_int_div_zero 0
	.end_amdhsa_kernel
	.text
.Lfunc_end0:
	.size	_Z8kernel_aiPViiPi, .Lfunc_end0-_Z8kernel_aiPViiPi
                                        ; -- End function
	.set _Z8kernel_aiPViiPi.num_vgpr, 39
	.set _Z8kernel_aiPViiPi.num_agpr, 0
	.set _Z8kernel_aiPViiPi.numbered_sgpr, 26
	.set _Z8kernel_aiPViiPi.num_named_barrier, 0
	.set _Z8kernel_aiPViiPi.private_seg_size, 0
	.set _Z8kernel_aiPViiPi.uses_vcc, 1
	.set _Z8kernel_aiPViiPi.uses_flat_scratch, 0
	.set _Z8kernel_aiPViiPi.has_dyn_sized_stack, 0
	.set _Z8kernel_aiPViiPi.has_recursion, 0
	.set _Z8kernel_aiPViiPi.has_indirect_call, 0
	.section	.AMDGPU.csdata,"",@progbits
; Kernel info:
; codeLenInByte = 33176
; TotalNumSgprs: 28
; NumVgprs: 39
; ScratchSize: 0
; MemoryBound: 0
; FloatMode: 240
; IeeeMode: 1
; LDSByteSize: 0 bytes/workgroup (compile time only)
; SGPRBlocks: 0
; VGPRBlocks: 2
; NumSGPRsForWavesPerEU: 28
; NumVGPRsForWavesPerEU: 39
; NamedBarCnt: 0
; Occupancy: 16
; WaveLimiterHint : 1
; COMPUTE_PGM_RSRC2:SCRATCH_EN: 0
; COMPUTE_PGM_RSRC2:USER_SGPR: 2
; COMPUTE_PGM_RSRC2:TRAP_HANDLER: 0
; COMPUTE_PGM_RSRC2:TGID_X_EN: 1
; COMPUTE_PGM_RSRC2:TGID_Y_EN: 0
; COMPUTE_PGM_RSRC2:TGID_Z_EN: 0
; COMPUTE_PGM_RSRC2:TIDIG_COMP_CNT: 0
	.text
	.p2alignl 7, 3214868480
	.fill 96, 4, 3214868480
	.section	.AMDGPU.gpr_maximums,"",@progbits
	.set amdgpu.max_num_vgpr, 0
	.set amdgpu.max_num_agpr, 0
	.set amdgpu.max_num_sgpr, 0
	.text
	.type	.str,@object                    ; @.str
	.section	.rodata.str1.1,"aMS",@progbits,1
.str:
	.asciz	"[device=%i][begin]  Wait on %i: %i (%i)\n"
	.size	.str, 41

	.type	.str.1,@object                  ; @.str.1
.str.1:
	.asciz	"[device=%i][break]  Wait on %i: %i (%i)\n"
	.size	.str.1, 41

	.type	.str.2,@object                  ; @.str.2
.str.2:
	.asciz	"[device=%i][return] Wait on %i: %i (%i)\n"
	.size	.str.2, 41

	.type	__hip_cuid_e0604562082d6cf3,@object ; @__hip_cuid_e0604562082d6cf3
	.section	.bss,"aw",@nobits
	.globl	__hip_cuid_e0604562082d6cf3
__hip_cuid_e0604562082d6cf3:
	.byte	0                               ; 0x0
	.size	__hip_cuid_e0604562082d6cf3, 1

	.ident	"AMD clang version 22.0.0git (https://github.com/RadeonOpenCompute/llvm-project roc-7.2.4 26084 f58b06dce1f9c15707c5f808fd002e18c2accf7e)"
	.section	".note.GNU-stack","",@progbits
	.addrsig
	.addrsig_sym __hip_cuid_e0604562082d6cf3
	.amdgpu_metadata
---
amdhsa.kernels:
  - .args:
      - .offset:         0
        .size:           4
        .value_kind:     by_value
      - .address_space:  global
        .offset:         8
        .size:           8
        .value_kind:     global_buffer
      - .offset:         16
        .size:           4
        .value_kind:     by_value
      - .address_space:  global
        .offset:         24
        .size:           8
        .value_kind:     global_buffer
      - .offset:         32
        .size:           4
        .value_kind:     hidden_block_count_x
      - .offset:         36
        .size:           4
        .value_kind:     hidden_block_count_y
      - .offset:         40
        .size:           4
        .value_kind:     hidden_block_count_z
      - .offset:         44
        .size:           2
        .value_kind:     hidden_group_size_x
      - .offset:         46
        .size:           2
        .value_kind:     hidden_group_size_y
      - .offset:         48
        .size:           2
        .value_kind:     hidden_group_size_z
      - .offset:         50
        .size:           2
        .value_kind:     hidden_remainder_x
      - .offset:         52
        .size:           2
        .value_kind:     hidden_remainder_y
      - .offset:         54
        .size:           2
        .value_kind:     hidden_remainder_z
      - .offset:         72
        .size:           8
        .value_kind:     hidden_global_offset_x
      - .offset:         80
        .size:           8
        .value_kind:     hidden_global_offset_y
      - .offset:         88
        .size:           8
        .value_kind:     hidden_global_offset_z
      - .offset:         96
        .size:           2
        .value_kind:     hidden_grid_dims
      - .offset:         112
        .size:           8
        .value_kind:     hidden_hostcall_buffer
    .group_segment_fixed_size: 0
    .kernarg_segment_align: 8
    .kernarg_segment_size: 288
    .language:       OpenCL C
    .language_version:
      - 2
      - 0
    .max_flat_workgroup_size: 1024
    .name:           _Z8kernel_aiPViiPi
    .private_segment_fixed_size: 0
    .sgpr_count:     28
    .sgpr_spill_count: 0
    .symbol:         _Z8kernel_aiPViiPi.kd
    .uniform_work_group_size: 1
    .uses_dynamic_stack: false
    .vgpr_count:     39
    .vgpr_spill_count: 0
    .wavefront_size: 32
amdhsa.target:   amdgcn-amd-amdhsa--gfx1250
amdhsa.version:
  - 1
  - 2
...

	.end_amdgpu_metadata
